;; amdgpu-corpus repo=ROCm/aiter kind=harvested arch=n/a opt=n/a

/root/src/amdgpu-assembly/repos/ROCm__aiter/hsa/gfx942/bf16gemm/bf16gemm_fp32bf16_tn_32x64_bshuffle_splitk.co:	file format elf64-amdgpu

Disassembly of section .text:

0000000000002900 <_ZN5aiter42bf16gemm_fp32bf16_tn_32x64_bshuffle_splitkE>:
	s_mov_b32 s49, s4                                          // 000000002900: BEB10004
	s_and_b32 s1, s1, 0xffff                                   // 000000002904: 8601FF01 0000FFFF
	s_load_dword s25, s[0:1], 0xe0                             // 00000000290C: C0020640 000000E0
	s_load_dword s26, s[0:1], 0xf0                             // 000000002914: C0020680 000000F0
	s_load_dword s27, s[0:1], 0x100                            // 00000000291C: C00206C0 00000100
	s_load_dword s28, s[0:1], 0xa0                             // 000000002924: C0020700 000000A0
	s_load_dword s29, s[0:1], 0xc0                             // 00000000292C: C0020740 000000C0
	s_load_dword s30, s[0:1], 0x80                             // 000000002934: C0020780 00000080
	s_load_dword s20, s[0:1], 0x40                             // 00000000293C: C0020500 00000040
	s_load_dword s21, s[0:1], 0x50                             // 000000002944: C0020540 00000050
	s_load_dwordx2 s[4:5], s[0:1], 0x20                        // 00000000294C: C0060100 00000020
	s_load_dwordx2 s[8:9], s[0:1], 0x30                        // 000000002954: C0060200 00000030
	s_load_dwordx2 s[12:13], s[0:1], 0x10                      // 00000000295C: C0060300 00000010
	s_load_dwordx2 s[16:17], s[0:1], 0x0                       // 000000002964: C0060400 00000000
	s_load_dword s48, s[0:1], 0x110                            // 00000000296C: C0020C00 00000110
	s_load_dword s50, s[0:1], 0x120                            // 000000002974: C0020C80 00000120
	s_load_dwordx2 s[36:37], s[0:1], 0x130                     // 00000000297C: C0060900 00000130
	s_load_dword s57, s[0:1], 0x140                            // 000000002984: C0020E40 00000140
	v_lshrrev_b32_e32 v1, 10, v0                               // 00000000298C: 2002008A
	v_lshrrev_b32_e32 v2, 10, v1                               // 000000002990: 2004028A
	v_and_b32_e32 v2, 0x3ff, v2                                // 000000002994: 260404FF 000003FF
	v_and_b32_e32 v1, 0x3ff, v1                                // 00000000299C: 260202FF 000003FF
	v_and_b32_e32 v0, 0x3ff, v0                                // 0000000029A4: 260000FF 000003FF
	v_lshrrev_b32_e32 v3, 6, v0                                // 0000000029AC: 20060086
	v_and_b32_e32 v0, 63, v0                                   // 0000000029B0: 260000BF
	s_mov_b32 s22, s2                                          // 0000000029B4: BE960002
	s_mov_b32 s23, s3                                          // 0000000029B8: BE970003
	v_readfirstlane_b32 s24, v3                                // 0000000029BC: 7E300503
	s_waitcnt lgkmcnt(0)                                       // 0000000029C0: BF8CC07F
	s_mov_b32 s18, -16                                         // 0000000029C4: BE9200D0
	s_mov_b32 s14, -16                                         // 0000000029C8: BE8E00D0
	s_mov_b32 s10, -16                                         // 0000000029CC: BE8A00D0
	s_mov_b32 s6, -16                                          // 0000000029D0: BE8600D0
	s_mov_b32 s38, -16                                         // 0000000029D4: BEA600D0
	s_mov_b32 s19, 0x20000                                     // 0000000029D8: BE9300FF 00020000
	s_mov_b32 s15, 0x20000                                     // 0000000029E0: BE8F00FF 00020000
	s_mov_b32 s11, 0x20000                                     // 0000000029E8: BE8B00FF 00020000
	s_mov_b32 s7, 0x20000                                      // 0000000029F0: BE8700FF 00020000
	s_mov_b32 s39, 0x20000                                     // 0000000029F8: BEA700FF 00020000
	s_and_b32 s17, s17, 0xffff                                 // 000000002A00: 8611FF11 0000FFFF
	s_and_b32 s13, s13, 0xffff                                 // 000000002A08: 860DFF0D 0000FFFF
	s_and_b32 s9, s9, 0xffff                                   // 000000002A10: 8609FF09 0000FFFF
	s_and_b32 s5, s5, 0xffff                                   // 000000002A18: 8605FF05 0000FFFF
	s_and_b32 s37, s37, 0xffff                                 // 000000002A20: 8625FF25 0000FFFF
	s_or_b32 s17, s17, 0x40000                                 // 000000002A28: 8711FF11 00040000
	s_or_b32 s13, s13, 0x40000                                 // 000000002A30: 870DFF0D 00040000
	s_or_b32 s9, s9, 0x40000                                   // 000000002A38: 8709FF09 00040000
	s_or_b32 s5, s5, 0x40000                                   // 000000002A40: 8705FF05 00040000
	s_or_b32 s37, s37, 0x40000                                 // 000000002A48: 8725FF25 00040000
	s_mov_b32 s35, 0x7060302                                   // 000000002A50: BEA300FF 07060302
	v_mov_b32_e32 v9, 0xffff0000                               // 000000002A58: 7E1202FF FFFF0000
	v_mov_b32_e32 v10, 0x7fff0000                              // 000000002A60: 7E1402FF 7FFF0000
	v_mov_b32_e32 v11, 0x7fff                                  // 000000002A68: 7E1602FF 00007FFF
	s_mul_i32 s31, s28, s25                                    // 000000002A70: 921F191C
	s_mov_b32 s6, s31                                          // 000000002A74: BE86001F
	s_mov_b32 s40, 0x80                                        // 000000002A78: BEA800FF 00000080
	v_lshrrev_b32_e32 v4, 5, v0                                // 000000002A80: 20080085
	v_lshlrev_b32_e32 v4, 2, v4                                // 000000002A84: 24080882
	v_mul_lo_u32 v15, v4, s28                                  // 000000002A88: D285000F 00003904
	v_and_b32_e32 v4, 31, v0                                   // 000000002A90: 2608009F
	v_lshlrev_b32_e32 v4, 2, v4                                // 000000002A94: 24080882
	v_add_u32_e32 v15, v15, v4                                 // 000000002A98: 681E090F
	s_mul_i32 s31, 8, s28                                      // 000000002A9C: 921F1C88
	v_add_u32_e64 v16, v15, s31                                // 000000002AA0: D1340010 00003F0F
	v_add_u32_e64 v17, v16, s31                                // 000000002AA8: D1340011 00003F10
	v_add_u32_e64 v18, v17, s31                                // 000000002AB0: D1340012 00003F11
	s_mul_i32 s31, s23, 32                                     // 000000002AB8: 921FA017
	s_add_u32 s31, s31, s24                                    // 000000002ABC: 801F181F
	s_mul_i32 s32, s31, s28                                    // 000000002AC0: 92201C1F
	v_add_u32_e64 v15, v15, s32                                // 000000002AC4: D134000F 0000410F
	v_add_u32_e64 v16, v16, s32                                // 000000002ACC: D1340010 00004110
	v_add_u32_e64 v17, v17, s32                                // 000000002AD4: D1340011 00004111
	v_add_u32_e64 v18, v18, s32                                // 000000002ADC: D1340012 00004112
	v_lshrrev_b32_e32 v4, 4, v0                                // 000000002AE4: 20080084
	v_lshlrev_b32_e32 v5, 2, v4                                // 000000002AE8: 240A0882
	v_and_b32_e32 v4, 15, v0                                   // 000000002AEC: 2608008F
	v_lshrrev_b32_e32 v6, 2, v4                                // 000000002AF0: 200C0882
	v_lshlrev_b32_e32 v6, 5, v6                                // 000000002AF4: 240C0C85
	v_add_u32_e32 v5, v6, v5                                   // 000000002AF8: 680A0B06
	v_and_b32_e32 v4, 3, v0                                    // 000000002AFC: 26080083
	v_mul_u32_u24_e32 v6, 0x108, v4                            // 000000002B00: 100C08FF 00000108
	v_add_u32_e32 v5, v6, v5                                   // 000000002B08: 680A0B06
	v_lshlrev_b32_e32 v19, 2, v5                               // 000000002B0C: 24260A82
	s_mul_i32 s31, s24, 0x420                                  // 000000002B10: 921FFF18 00000420
	s_add_u32 s42, 0, s31                                      // 000000002B18: 802A1F80
	s_add_u32 s43, 0x1080, s42                                 // 000000002B1C: 802B2AFF 00001080
	s_add_u32 s44, 0x1080, s43                                 // 000000002B24: 802C2BFF 00001080
	s_mul_i32 s31, s29, s26                                    // 000000002B2C: 921F1A1D
	s_mov_b32 s10, s31                                         // 000000002B30: BE8A001F
	s_mov_b32 s41, 0x800                                       // 000000002B34: BEA900FF 00000800
	v_lshlrev_b32_e32 v20, 4, v0                               // 000000002B3C: 24280084
	s_mov_b32 s31, 0x400                                       // 000000002B40: BE9F00FF 00000400
	v_add_u32_e64 v21, v20, s31                                // 000000002B48: D1340015 00003F14
	s_mul_i32 s31, s22, 64                                     // 000000002B50: 921FC016
	s_mul_i32 s32, 16, s24                                     // 000000002B54: 92201890
	s_add_u32 s31, s31, s32                                    // 000000002B58: 801F201F
	s_mul_i32 s32, s31, s29                                    // 000000002B5C: 92201D1F
	v_add_u32_e64 v20, v20, s32                                // 000000002B60: D1340014 00004114
	v_add_u32_e64 v21, v21, s32                                // 000000002B68: D1340015 00004115
	s_cmp_le_u32 s48, 1                                        // 000000002B70: BF0B8130
	s_cbranch_scc1 label_00D4                                  // 000000002B74: BF850036
	s_lshr_b32 s32, s27, 6                                     // 000000002B78: 8F20861B
	v_cvt_f32_u32_e32 v4, s48                                  // 000000002B7C: 7E080C30
	s_sub_i32 s31, 0, s48                                      // 000000002B80: 819F3080
	v_rcp_iflag_f32_e32 v4, v4                                 // 000000002B84: 7E084704
	s_nop 0                                                    // 000000002B88: BF800000
	v_mul_f32_e32 v4, 0x4f7ffffe, v4                           // 000000002B8C: 0A0808FF 4F7FFFFE
	v_cvt_u32_f32_e32 v4, v4                                   // 000000002B94: 7E080F04
	v_mul_lo_u32 v5, s31, v4                                   // 000000002B98: D2850005 0002081F
	v_mul_hi_u32 v5, v4, v5                                    // 000000002BA0: D2860005 00020B04
	v_add_u32_e32 v4, v4, v5                                   // 000000002BA8: 68080B04
	v_mul_hi_u32 v4, s32, v4                                   // 000000002BAC: D2860004 00020820
	v_mul_lo_u32 v5, v4, s48                                   // 000000002BB4: D2850005 00006104
	v_sub_u32_e32 v7, s32, v5                                  // 000000002BBC: 6A0E0A20
	v_add_u32_e32 v6, 1, v4                                    // 000000002BC0: 680C0881
	v_cmp_le_u32_e32 vcc, s48, v7                              // 000000002BC4: 7D960E30
	v_subrev_u32_e32 v5, s48, v7                               // 000000002BC8: 6C0A0E30
	s_nop 0                                                    // 000000002BCC: BF800000
	v_cndmask_b32_e32 v4, v4, v6, vcc                          // 000000002BD0: 00080D04
	v_cndmask_b32_e32 v7, v7, v5, vcc                          // 000000002BD4: 000E0B07
	v_add_u32_e32 v5, 1, v4                                    // 000000002BD8: 680A0881
	v_cmp_le_u32_e32 vcc, s48, v7                              // 000000002BDC: 7D960E30
	s_nop 1                                                    // 000000002BE0: BF800001
	v_cndmask_b32_e32 v7, v4, v5, vcc                          // 000000002BE4: 000E0B04
	s_nop 3                                                    // 000000002BE8: BF800003
	v_readfirstlane_b32 s32, v7                                // 000000002BEC: 7E400507
	s_nop 3                                                    // 000000002BF0: BF800003
	s_mul_i32 s32, s32, 64                                     // 000000002BF4: 9220C020
	s_mul_i32 s31, s49, s32                                    // 000000002BF8: 921F2031
	s_sub_i32 s52, s27, s31                                    // 000000002BFC: 81B41F1B
	s_sub_i32 s31, s48, 1                                      // 000000002C00: 819F8130
	s_cmp_eq_i32 s49, s31                                      // 000000002C04: BF001F31
	s_cselect_b32 s27, s52, s32                                // 000000002C08: 851B2034
	s_mul_i32 s31, s32, 2                                      // 000000002C0C: 921F8220
	s_mul_i32 s31, s31, s49                                    // 000000002C10: 921F311F
	v_add_u32_e64 v15, v15, s31                                // 000000002C14: D134000F 00003F0F
	v_add_u32_e64 v16, v16, s31                                // 000000002C1C: D1340010 00003F10
	v_add_u32_e64 v17, v17, s31                                // 000000002C24: D1340011 00003F11
	v_add_u32_e64 v18, v18, s31                                // 000000002C2C: D1340012 00003F12
	s_mul_i32 s31, s32, 2                                      // 000000002C34: 921F8220
	s_mul_i32 s31, s31, s49                                    // 000000002C38: 921F311F
	s_mul_i32 s31, s31, 16                                     // 000000002C3C: 921F901F
	v_add_u32_e64 v20, v20, s31                                // 000000002C40: D1340014 00003F14
	v_add_u32_e64 v21, v21, s31                                // 000000002C48: D1340015 00003F15

0000000000002c50 <label_00D4>:
	s_mul_i32 s31, s30, s25                                    // 000000002C50: 921F191E
	s_mov_b32 s18, s31                                         // 000000002C54: BE92001F
	s_cmp_lt_u32 s50, 1                                        // 000000002C58: BF0A8132
	s_cbranch_scc0 label_00F2                                  // 000000002C5C: BF84001A
	v_and_b32_e64 v12, v0, 15                                  // 000000002C60: D113000C 00011F00
	v_mul_lo_u32 v12, v12, s30                                 // 000000002C68: D285000C 00003D0C
	v_lshrrev_b32_e32 v4, 4, v0                                // 000000002C70: 20080084
	v_mul_i32_i24_e32 v4, 16, v4                               // 000000002C74: 0C080890
	v_add_u32_e32 v12, v4, v12                                 // 000000002C78: 68181904
	s_mul_i32 s31, s23, 32                                     // 000000002C7C: 921FA017
	s_mul_i32 s31, s31, s30                                    // 000000002C80: 921F1E1F
	v_add_u32_e32 v12, s31, v12                                // 000000002C84: 6818181F
	s_mul_i32 s31, s22, 64                                     // 000000002C88: 921FC016
	s_mul_i32 s31, s31, 4                                      // 000000002C8C: 921F841F
	v_add_u32_e32 v12, s31, v12                                // 000000002C90: 6818181F
	s_mul_i32 s31, 64, s24                                     // 000000002C94: 921F18C0
	v_add_u32_e32 v12, s31, v12                                // 000000002C98: 6818181F
	s_mul_i32 s31, 16, s30                                     // 000000002C9C: 921F1E90
	v_add_u32_e32 v13, s31, v12                                // 000000002CA0: 681A181F
	s_mul_i32 s31, s23, 32                                     // 000000002CA4: 921FA017
	s_add_i32 s31, s31, s24                                    // 000000002CA8: 811F181F
	s_mul_i32 s31, s31, s30                                    // 000000002CAC: 921F1E1F
	s_mul_i32 s32, s22, 64                                     // 000000002CB0: 9220C016
	s_mul_i32 s32, s32, 4                                      // 000000002CB4: 92208420
	s_add_i32 s31, s31, s32                                    // 000000002CB8: 811F201F
	v_lshlrev_b32_e32 v14, 2, v0                               // 000000002CBC: 241C0082
	v_add_u32_e32 v14, s31, v14                                // 000000002CC0: 681C1C1F
	s_branch label_0111                                        // 000000002CC4: BF82001F

0000000000002cc8 <label_00F2>:
	v_and_b32_e64 v12, v0, 15                                  // 000000002CC8: D113000C 00011F00
	v_mul_lo_u32 v12, v12, s30                                 // 000000002CD0: D285000C 00003D0C
	v_lshrrev_b32_e32 v4, 4, v0                                // 000000002CD8: 20080084
	v_mul_i32_i24_e32 v4, 8, v4                                // 000000002CDC: 0C080888
	v_add_u32_e32 v12, v4, v12                                 // 000000002CE0: 68181904
	s_mul_i32 s31, s23, 32                                     // 000000002CE4: 921FA017
	s_mul_i32 s31, s31, s30                                    // 000000002CE8: 921F1E1F
	v_add_u32_e32 v12, s31, v12                                // 000000002CEC: 6818181F
	s_mul_i32 s31, s22, 64                                     // 000000002CF0: 921FC016
	s_mul_i32 s31, s31, 2                                      // 000000002CF4: 921F821F
	v_add_u32_e32 v12, s31, v12                                // 000000002CF8: 6818181F
	s_mul_i32 s31, 32, s24                                     // 000000002CFC: 921F18A0
	v_add_u32_e32 v12, s31, v12                                // 000000002D00: 6818181F
	s_mul_i32 s31, 16, s30                                     // 000000002D04: 921F1E90
	v_add_u32_e32 v13, s31, v12                                // 000000002D08: 681A181F
	s_mul_i32 s31, s23, 32                                     // 000000002D0C: 921FA017
	s_add_i32 s31, s31, s24                                    // 000000002D10: 811F181F
	s_mul_i32 s31, s31, s30                                    // 000000002D14: 921F1E1F
	s_mul_i32 s32, s22, 64                                     // 000000002D18: 9220C016
	s_mul_i32 s32, s32, 2                                      // 000000002D1C: 92208220
	s_add_i32 s31, s31, s32                                    // 000000002D20: 811F201F
	v_lshrrev_b32_e32 v4, 5, v0                                // 000000002D24: 20080085
	s_mul_i32 s32, s30, 4                                      // 000000002D28: 9220841E
	v_mul_lo_u32 v4, v4, s32                                   // 000000002D2C: D2850004 00004104
	v_and_b32_e32 v5, 31, v0                                   // 000000002D34: 260A009F
	v_lshlrev_b32_e32 v5, 2, v5                                // 000000002D38: 240A0A82
	v_add_u32_e32 v14, v4, v5                                  // 000000002D3C: 681C0B04
	v_add_u32_e32 v14, s31, v14                                // 000000002D40: 681C1C1F

0000000000002d44 <label_0111>:
	s_cmp_eq_u32 s57, 1                                        // 000000002D44: BF068139
	s_cbranch_scc0 label_013C                                  // 000000002D48: BF840029
	s_cmp_eq_i32 s49, 0                                        // 000000002D4C: BF008031
	s_cbranch_scc0 label_013C                                  // 000000002D50: BF840027
	s_mul_i32 s31, 2, s26                                      // 000000002D54: 921F1A82
	s_mov_b32 s38, s31                                         // 000000002D58: BEA6001F
	v_lshrrev_b32_e32 v4, 4, v0                                // 000000002D5C: 20080084
	v_mul_i32_i24_e32 v36, 8, v4                               // 000000002D60: 0C480888
	s_mul_i32 s31, 32, s24                                     // 000000002D64: 921F18A0
	v_add_u32_e32 v36, s31, v36                                // 000000002D68: 6848481F
	s_mul_i32 s32, s22, 64                                     // 000000002D6C: 9220C016
	s_mul_i32 s32, s32, 2                                      // 000000002D70: 92208220
	v_add_u32_e32 v36, s32, v36                                // 000000002D74: 68484820
	v_mov_b32_e32 v38, 0                                       // 000000002D78: 7E4C0280
	v_mov_b32_e32 v39, 0                                       // 000000002D7C: 7E4E0280
	buffer_load_dwordx2 v[38:39], v36, s[36:39], 0 offen       // 000000002D80: E0541000 80092624
	s_waitcnt vmcnt(0)                                         // 000000002D88: BF8C0F70
	v_mov_b32_e32 v4, 0xffff0000                               // 000000002D8C: 7E0802FF FFFF0000
	v_and_b32_e32 v4, v38, v4                                  // 000000002D94: 26080926
	v_mov_b32_e32 v5, 0xffff                                   // 000000002D98: 7E0A02FF 0000FFFF
	v_and_b32_e32 v5, v38, v5                                  // 000000002DA0: 260A0B26
	v_mov_b32_e32 v41, v4                                      // 000000002DA4: 7E520304
	v_lshlrev_b32_e32 v40, 16, v5                              // 000000002DA8: 24500A90
	v_mov_b32_e32 v4, 0xffff0000                               // 000000002DAC: 7E0802FF FFFF0000
	v_and_b32_e32 v4, v39, v4                                  // 000000002DB4: 26080927
	v_mov_b32_e32 v5, 0xffff                                   // 000000002DB8: 7E0A02FF 0000FFFF
	v_and_b32_e32 v5, v39, v5                                  // 000000002DC0: 260A0B27
	v_mov_b32_e32 v43, v4                                      // 000000002DC4: 7E560304
	v_lshlrev_b32_e32 v42, 16, v5                              // 000000002DC8: 24540A90
	v_mov_b32_e32 v24, v40                                     // 000000002DCC: 7E300328
	v_mov_b32_e32 v25, v41                                     // 000000002DD0: 7E320329
	v_mov_b32_e32 v26, v42                                     // 000000002DD4: 7E34032A
	v_mov_b32_e32 v27, v43                                     // 000000002DD8: 7E36032B
	v_mov_b32_e32 v28, v40                                     // 000000002DDC: 7E380328
	v_mov_b32_e32 v29, v41                                     // 000000002DE0: 7E3A0329
	v_mov_b32_e32 v30, v42                                     // 000000002DE4: 7E3C032A
	v_mov_b32_e32 v31, v43                                     // 000000002DE8: 7E3E032B
	s_branch label_0144                                        // 000000002DEC: BF820008

0000000000002df0 <label_013C>:
	v_mov_b32_e32 v24, 0                                       // 000000002DF0: 7E300280
	v_mov_b32_e32 v25, 0                                       // 000000002DF4: 7E320280
	v_mov_b32_e32 v26, 0                                       // 000000002DF8: 7E340280
	v_mov_b32_e32 v27, 0                                       // 000000002DFC: 7E360280
	v_mov_b32_e32 v28, 0                                       // 000000002E00: 7E380280
	v_mov_b32_e32 v29, 0                                       // 000000002E04: 7E3A0280
	v_mov_b32_e32 v30, 0                                       // 000000002E08: 7E3C0280
	v_mov_b32_e32 v31, 0                                       // 000000002E0C: 7E3E0280

0000000000002e10 <label_0144>:
	s_add_u32 m0, 0, s42                                       // 000000002E10: 807C2A80
	buffer_load_dword v15, s[4:7], 0 offen lds                 // 000000002E14: E0511000 8001000F
	s_add_u32 m0, 0x100, s42                                   // 000000002E1C: 807C2AFF 00000100
	buffer_load_dword v16, s[4:7], 0 offen lds                 // 000000002E24: E0511000 80010010
	s_add_u32 m0, 0x200, s42                                   // 000000002E2C: 807C2AFF 00000200
	buffer_load_dword v17, s[4:7], 0 offen lds                 // 000000002E34: E0511000 80010011
	s_add_u32 m0, 0x300, s42                                   // 000000002E3C: 807C2AFF 00000300
	buffer_load_dword v18, s[4:7], 0 offen lds                 // 000000002E44: E0511000 80010012
	s_add_u32 s4, s40, s4                                      // 000000002E4C: 80040428
	s_addc_u32 s5, 0, s5                                       // 000000002E50: 82050580
	s_sub_u32 s6, s6, s40                                      // 000000002E54: 80862806
	buffer_load_dwordx4 a[32:35], v20, s[8:11], 0 offen        // 000000002E58: E05C1000 80822014
	buffer_load_dwordx4 a[36:39], v21, s[8:11], 0 offen        // 000000002E60: E05C1000 80822415
	s_add_u32 s8, s41, s8                                      // 000000002E68: 80080829
	s_addc_u32 s9, 0, s9                                       // 000000002E6C: 82090980
	s_sub_u32 s10, s10, s41                                    // 000000002E70: 808A290A
	s_add_u32 m0, 0, s43                                       // 000000002E74: 807C2B80
	buffer_load_dword v15, s[4:7], 0 offen lds                 // 000000002E78: E0511000 8001000F
	s_add_u32 m0, 0x100, s43                                   // 000000002E80: 807C2BFF 00000100
	buffer_load_dword v16, s[4:7], 0 offen lds                 // 000000002E88: E0511000 80010010
	s_add_u32 m0, 0x200, s43                                   // 000000002E90: 807C2BFF 00000200
	buffer_load_dword v17, s[4:7], 0 offen lds                 // 000000002E98: E0511000 80010011
	s_add_u32 m0, 0x300, s43                                   // 000000002EA0: 807C2BFF 00000300
	buffer_load_dword v18, s[4:7], 0 offen lds                 // 000000002EA8: E0511000 80010012
	s_add_u32 s4, s40, s4                                      // 000000002EB0: 80040428
	s_addc_u32 s5, 0, s5                                       // 000000002EB4: 82050580
	s_sub_u32 s6, s6, s40                                      // 000000002EB8: 80862806
	buffer_load_dwordx4 a[40:43], v20, s[8:11], 0 offen        // 000000002EBC: E05C1000 80822814
	buffer_load_dwordx4 a[44:47], v21, s[8:11], 0 offen        // 000000002EC4: E05C1000 80822C15
	s_add_u32 s8, s41, s8                                      // 000000002ECC: 80080829
	s_addc_u32 s9, 0, s9                                       // 000000002ED0: 82090980
	s_sub_u32 s10, s10, s41                                    // 000000002ED4: 808A290A
	s_add_u32 m0, 0, s44                                       // 000000002ED8: 807C2C80
	buffer_load_dword v15, s[4:7], 0 offen lds                 // 000000002EDC: E0511000 8001000F
	s_add_u32 m0, 0x100, s44                                   // 000000002EE4: 807C2CFF 00000100
	buffer_load_dword v16, s[4:7], 0 offen lds                 // 000000002EEC: E0511000 80010010
	s_add_u32 m0, 0x200, s44                                   // 000000002EF4: 807C2CFF 00000200
	buffer_load_dword v17, s[4:7], 0 offen lds                 // 000000002EFC: E0511000 80010011
	s_add_u32 m0, 0x300, s44                                   // 000000002F04: 807C2CFF 00000300
	buffer_load_dword v18, s[4:7], 0 offen lds                 // 000000002F0C: E0511000 80010012
	s_add_u32 s4, s40, s4                                      // 000000002F14: 80040428
	s_addc_u32 s5, 0, s5                                       // 000000002F18: 82050580
	s_sub_u32 s6, s6, s40                                      // 000000002F1C: 80862806
	s_mov_b32 s34, s27                                         // 000000002F20: BEA2001B
	s_mov_b32 s33, 0                                           // 000000002F24: BEA10080
	s_mul_i32 s31, s23, 32                                     // 000000002F28: 921FA017
	s_sub_i32 s51, s25, s31                                    // 000000002F2C: 81B31F19
	s_waitcnt vmcnt(12)                                        // 000000002F30: BF8C0F7C
	s_barrier                                                  // 000000002F34: BF8A0000
	ds_read_b128 a[0:3], v19                                   // 000000002F38: DBFE0000 00000013
	ds_read_b128 a[4:7], v19 offset:64                         // 000000002F40: DBFE0040 04000013
	ds_read_b128 a[8:11], v19 offset:512                       // 000000002F48: DBFE0200 08000013
	ds_read_b128 a[12:15], v19 offset:576                      // 000000002F50: DBFE0240 0C000013
	s_cmp_lt_i32 s24, 2                                        // 000000002F58: BF048218
	s_cbranch_scc0 label_0301                                  // 000000002F5C: BF840169

0000000000002f60 <label_0198>:
	s_waitcnt vmcnt(6) lgkmcnt(0)                              // 000000002F60: BF8C0076
	s_barrier                                                  // 000000002F64: BF8A0000
	v_mfma_f32_16x16x16_bf16 v[24:27], a[32:33], a[0:1], v[24:27]// 000000002F68: D3E10018 1C620120
	s_add_u32 m0, 0, s42                                       // 000000002F70: 807C2A80
	buffer_load_dword v15, s[4:7], 0 offen lds                 // 000000002F74: E0511000 8001000F
	v_mfma_f32_16x16x16_bf16 v[24:27], a[34:35], a[2:3], v[24:27]// 000000002F7C: D3E10018 1C620522
	s_add_u32 m0, 0x100, s42                                   // 000000002F84: 807C2AFF 00000100
	buffer_load_dword v16, s[4:7], 0 offen lds                 // 000000002F8C: E0511000 80010010
	ds_read_b128 a[16:19], v19 offset:4224                     // 000000002F94: DBFE1080 10000013
	ds_read_b128 a[20:23], v19 offset:4288                     // 000000002F9C: DBFE10C0 14000013
	v_mfma_f32_16x16x16_bf16 v[24:27], a[36:37], a[4:5], v[24:27]// 000000002FA4: D3E10018 1C620924
	s_add_u32 m0, 0x200, s42                                   // 000000002FAC: 807C2AFF 00000200
	buffer_load_dword v17, s[4:7], 0 offen lds                 // 000000002FB4: E0511000 80010011
	v_mfma_f32_16x16x16_bf16 v[24:27], a[38:39], a[6:7], v[24:27]// 000000002FBC: D3E10018 1C620D26
	s_add_u32 m0, 0x300, s42                                   // 000000002FC4: 807C2AFF 00000300
	buffer_load_dword v18, s[4:7], 0 offen lds                 // 000000002FCC: E0511000 80010012
	ds_read_b128 a[24:27], v19 offset:4736                     // 000000002FD4: DBFE1280 18000013
	ds_read_b128 a[28:31], v19 offset:4800                     // 000000002FDC: DBFE12C0 1C000013
	v_mfma_f32_16x16x16_bf16 v[28:31], a[32:33], a[8:9], v[28:31]// 000000002FE4: D3E1001C 1C721120
	s_add_u32 s31, 0x100, s33                                  // 000000002FEC: 801F21FF 00000100
	s_cmp_lt_u32 s31, s34                                      // 000000002FF4: BF0A221F
	s_cselect_b32 s40, s40, 0                                  // 000000002FF8: 85288028
	buffer_load_dwordx4 a[48:51], v20, s[8:11], 0 offen        // 000000002FFC: E05C1000 80823014
	v_mfma_f32_16x16x16_bf16 v[28:31], a[34:35], a[10:11], v[28:31]// 000000003004: D3E1001C 1C721522
	buffer_load_dwordx4 a[52:55], v21, s[8:11], 0 offen        // 00000000300C: E05C1000 80823415
	s_add_u32 s4, s40, s4                                      // 000000003014: 80040428
	s_addc_u32 s5, 0, s5                                       // 000000003018: 82050580
	v_mfma_f32_16x16x16_bf16 v[28:31], a[36:37], a[12:13], v[28:31]// 00000000301C: D3E1001C 1C721924
	s_add_u32 s31, 0xc0, s33                                   // 000000003024: 801F21FF 000000C0
	s_cmp_lt_u32 s31, s34                                      // 00000000302C: BF0A221F
	s_cselect_b32 s41, s41, 0                                  // 000000003030: 85298029
	v_mfma_f32_16x16x16_bf16 v[28:31], a[38:39], a[14:15], v[28:31]// 000000003034: D3E1001C 1C721D26
	s_add_u32 s8, s41, s8                                      // 00000000303C: 80080829
	s_addc_u32 s9, 0, s9                                       // 000000003040: 82090980
	s_addk_i32 s33, 0x40                                       // 000000003044: B7210040
	s_cmp_lt_i32 s33, s34                                      // 000000003048: BF042221
	s_cbranch_scc0 label_046A                                  // 00000000304C: BF840296
	s_waitcnt vmcnt(6) lgkmcnt(0)                              // 000000003050: BF8C0076
	s_barrier                                                  // 000000003054: BF8A0000
	v_mfma_f32_16x16x16_bf16 v[24:27], a[40:41], a[16:17], v[24:27]// 000000003058: D3E10018 1C622128
	s_add_u32 m0, 0, s43                                       // 000000003060: 807C2B80
	buffer_load_dword v15, s[4:7], 0 offen lds                 // 000000003064: E0511000 8001000F
	v_mfma_f32_16x16x16_bf16 v[24:27], a[42:43], a[18:19], v[24:27]// 00000000306C: D3E10018 1C62252A
	s_add_u32 m0, 0x100, s43                                   // 000000003074: 807C2BFF 00000100
	buffer_load_dword v16, s[4:7], 0 offen lds                 // 00000000307C: E0511000 80010010
	ds_read_b128 a[0:3], v19 offset:8448                       // 000000003084: DBFE2100 00000013
	ds_read_b128 a[4:7], v19 offset:8512                       // 00000000308C: DBFE2140 04000013
	v_mfma_f32_16x16x16_bf16 v[24:27], a[44:45], a[20:21], v[24:27]// 000000003094: D3E10018 1C62292C
	s_add_u32 m0, 0x200, s43                                   // 00000000309C: 807C2BFF 00000200
	buffer_load_dword v17, s[4:7], 0 offen lds                 // 0000000030A4: E0511000 80010011
	v_mfma_f32_16x16x16_bf16 v[24:27], a[46:47], a[22:23], v[24:27]// 0000000030AC: D3E10018 1C622D2E
	s_add_u32 m0, 0x300, s43                                   // 0000000030B4: 807C2BFF 00000300
	buffer_load_dword v18, s[4:7], 0 offen lds                 // 0000000030BC: E0511000 80010012
	ds_read_b128 a[8:11], v19 offset:8960                      // 0000000030C4: DBFE2300 08000013
	ds_read_b128 a[12:15], v19 offset:9024                     // 0000000030CC: DBFE2340 0C000013
	v_mfma_f32_16x16x16_bf16 v[28:31], a[40:41], a[24:25], v[28:31]// 0000000030D4: D3E1001C 1C723128
	s_add_u32 s31, 0x100, s33                                  // 0000000030DC: 801F21FF 00000100
	s_cmp_lt_u32 s31, s34                                      // 0000000030E4: BF0A221F
	s_cselect_b32 s40, s40, 0                                  // 0000000030E8: 85288028
	buffer_load_dwordx4 a[32:35], v20, s[8:11], 0 offen        // 0000000030EC: E05C1000 80822014
	v_mfma_f32_16x16x16_bf16 v[28:31], a[42:43], a[26:27], v[28:31]// 0000000030F4: D3E1001C 1C72352A
	buffer_load_dwordx4 a[36:39], v21, s[8:11], 0 offen        // 0000000030FC: E05C1000 80822415
	s_add_u32 s4, s40, s4                                      // 000000003104: 80040428
	s_addc_u32 s5, 0, s5                                       // 000000003108: 82050580
	v_mfma_f32_16x16x16_bf16 v[28:31], a[44:45], a[28:29], v[28:31]// 00000000310C: D3E1001C 1C72392C
	s_add_u32 s31, 0xc0, s33                                   // 000000003114: 801F21FF 000000C0
	s_cmp_lt_u32 s31, s34                                      // 00000000311C: BF0A221F
	s_cselect_b32 s41, s41, 0                                  // 000000003120: 85298029
	v_mfma_f32_16x16x16_bf16 v[28:31], a[46:47], a[30:31], v[28:31]// 000000003124: D3E1001C 1C723D2E
	s_add_u32 s8, s41, s8                                      // 00000000312C: 80080829
	s_addc_u32 s9, 0, s9                                       // 000000003130: 82090980
	s_addk_i32 s33, 0x40                                       // 000000003134: B7210040
	s_cmp_lt_i32 s33, s34                                      // 000000003138: BF042221
	s_cbranch_scc0 label_046A                                  // 00000000313C: BF84025A
	s_waitcnt vmcnt(6) lgkmcnt(0)                              // 000000003140: BF8C0076
	s_barrier                                                  // 000000003144: BF8A0000
	v_mfma_f32_16x16x16_bf16 v[24:27], a[48:49], a[0:1], v[24:27]// 000000003148: D3E10018 1C620130
	s_add_u32 m0, 0, s44                                       // 000000003150: 807C2C80
	buffer_load_dword v15, s[4:7], 0 offen lds                 // 000000003154: E0511000 8001000F
	v_mfma_f32_16x16x16_bf16 v[24:27], a[50:51], a[2:3], v[24:27]// 00000000315C: D3E10018 1C620532
	s_add_u32 m0, 0x100, s44                                   // 000000003164: 807C2CFF 00000100
	buffer_load_dword v16, s[4:7], 0 offen lds                 // 00000000316C: E0511000 80010010
	ds_read_b128 a[16:19], v19                                 // 000000003174: DBFE0000 10000013
	ds_read_b128 a[20:23], v19 offset:64                       // 00000000317C: DBFE0040 14000013
	v_mfma_f32_16x16x16_bf16 v[24:27], a[52:53], a[4:5], v[24:27]// 000000003184: D3E10018 1C620934
	s_add_u32 m0, 0x200, s44                                   // 00000000318C: 807C2CFF 00000200
	buffer_load_dword v17, s[4:7], 0 offen lds                 // 000000003194: E0511000 80010011
	v_mfma_f32_16x16x16_bf16 v[24:27], a[54:55], a[6:7], v[24:27]// 00000000319C: D3E10018 1C620D36
	s_add_u32 m0, 0x300, s44                                   // 0000000031A4: 807C2CFF 00000300
	buffer_load_dword v18, s[4:7], 0 offen lds                 // 0000000031AC: E0511000 80010012
	ds_read_b128 a[24:27], v19 offset:512                      // 0000000031B4: DBFE0200 18000013
	ds_read_b128 a[28:31], v19 offset:576                      // 0000000031BC: DBFE0240 1C000013
	v_mfma_f32_16x16x16_bf16 v[28:31], a[48:49], a[8:9], v[28:31]// 0000000031C4: D3E1001C 1C721130
	s_add_u32 s31, 0x100, s33                                  // 0000000031CC: 801F21FF 00000100
	s_cmp_lt_u32 s31, s34                                      // 0000000031D4: BF0A221F
	s_cselect_b32 s40, s40, 0                                  // 0000000031D8: 85288028
	buffer_load_dwordx4 a[40:43], v20, s[8:11], 0 offen        // 0000000031DC: E05C1000 80822814
	v_mfma_f32_16x16x16_bf16 v[28:31], a[50:51], a[10:11], v[28:31]// 0000000031E4: D3E1001C 1C721532
	buffer_load_dwordx4 a[44:47], v21, s[8:11], 0 offen        // 0000000031EC: E05C1000 80822C15
	s_add_u32 s4, s40, s4                                      // 0000000031F4: 80040428
	s_addc_u32 s5, 0, s5                                       // 0000000031F8: 82050580
	v_mfma_f32_16x16x16_bf16 v[28:31], a[52:53], a[12:13], v[28:31]// 0000000031FC: D3E1001C 1C721934
	s_add_u32 s31, 0xc0, s33                                   // 000000003204: 801F21FF 000000C0
	s_cmp_lt_u32 s31, s34                                      // 00000000320C: BF0A221F
	s_cselect_b32 s41, s41, 0                                  // 000000003210: 85298029
	v_mfma_f32_16x16x16_bf16 v[28:31], a[54:55], a[14:15], v[28:31]// 000000003214: D3E1001C 1C721D36
	s_add_u32 s8, s41, s8                                      // 00000000321C: 80080829
	s_addc_u32 s9, 0, s9                                       // 000000003220: 82090980
	s_addk_i32 s33, 0x40                                       // 000000003224: B7210040
	s_cmp_lt_i32 s33, s34                                      // 000000003228: BF042221
	s_cbranch_scc0 label_046A                                  // 00000000322C: BF84021E
	s_waitcnt vmcnt(6) lgkmcnt(0)                              // 000000003230: BF8C0076
	s_barrier                                                  // 000000003234: BF8A0000
	v_mfma_f32_16x16x16_bf16 v[24:27], a[32:33], a[16:17], v[24:27]// 000000003238: D3E10018 1C622120
	s_add_u32 m0, 0, s42                                       // 000000003240: 807C2A80
	buffer_load_dword v15, s[4:7], 0 offen lds                 // 000000003244: E0511000 8001000F
	v_mfma_f32_16x16x16_bf16 v[24:27], a[34:35], a[18:19], v[24:27]// 00000000324C: D3E10018 1C622522
	s_add_u32 m0, 0x100, s42                                   // 000000003254: 807C2AFF 00000100
	buffer_load_dword v16, s[4:7], 0 offen lds                 // 00000000325C: E0511000 80010010
	ds_read_b128 a[0:3], v19 offset:4224                       // 000000003264: DBFE1080 00000013
	ds_read_b128 a[4:7], v19 offset:4288                       // 00000000326C: DBFE10C0 04000013
	v_mfma_f32_16x16x16_bf16 v[24:27], a[36:37], a[20:21], v[24:27]// 000000003274: D3E10018 1C622924
	s_add_u32 m0, 0x200, s42                                   // 00000000327C: 807C2AFF 00000200
	buffer_load_dword v17, s[4:7], 0 offen lds                 // 000000003284: E0511000 80010011
	v_mfma_f32_16x16x16_bf16 v[24:27], a[38:39], a[22:23], v[24:27]// 00000000328C: D3E10018 1C622D26
	s_add_u32 m0, 0x300, s42                                   // 000000003294: 807C2AFF 00000300
	buffer_load_dword v18, s[4:7], 0 offen lds                 // 00000000329C: E0511000 80010012
	ds_read_b128 a[8:11], v19 offset:4736                      // 0000000032A4: DBFE1280 08000013
	ds_read_b128 a[12:15], v19 offset:4800                     // 0000000032AC: DBFE12C0 0C000013
	v_mfma_f32_16x16x16_bf16 v[28:31], a[32:33], a[24:25], v[28:31]// 0000000032B4: D3E1001C 1C723120
	s_add_u32 s31, 0x100, s33                                  // 0000000032BC: 801F21FF 00000100
	s_cmp_lt_u32 s31, s34                                      // 0000000032C4: BF0A221F
	s_cselect_b32 s40, s40, 0                                  // 0000000032C8: 85288028
	buffer_load_dwordx4 a[48:51], v20, s[8:11], 0 offen        // 0000000032CC: E05C1000 80823014
	v_mfma_f32_16x16x16_bf16 v[28:31], a[34:35], a[26:27], v[28:31]// 0000000032D4: D3E1001C 1C723522
	buffer_load_dwordx4 a[52:55], v21, s[8:11], 0 offen        // 0000000032DC: E05C1000 80823415
	s_add_u32 s4, s40, s4                                      // 0000000032E4: 80040428
	s_addc_u32 s5, 0, s5                                       // 0000000032E8: 82050580
	v_mfma_f32_16x16x16_bf16 v[28:31], a[36:37], a[28:29], v[28:31]// 0000000032EC: D3E1001C 1C723924
	s_add_u32 s31, 0xc0, s33                                   // 0000000032F4: 801F21FF 000000C0
	s_cmp_lt_u32 s31, s34                                      // 0000000032FC: BF0A221F
	s_cselect_b32 s41, s41, 0                                  // 000000003300: 85298029
	v_mfma_f32_16x16x16_bf16 v[28:31], a[38:39], a[30:31], v[28:31]// 000000003304: D3E1001C 1C723D26
	s_add_u32 s8, s41, s8                                      // 00000000330C: 80080829
	s_addc_u32 s9, 0, s9                                       // 000000003310: 82090980
	s_addk_i32 s33, 0x40                                       // 000000003314: B7210040
	s_cmp_lt_i32 s33, s34                                      // 000000003318: BF042221
	s_cbranch_scc0 label_046A                                  // 00000000331C: BF8401E2
	s_waitcnt vmcnt(6) lgkmcnt(0)                              // 000000003320: BF8C0076
	s_barrier                                                  // 000000003324: BF8A0000
	v_mfma_f32_16x16x16_bf16 v[24:27], a[40:41], a[0:1], v[24:27]// 000000003328: D3E10018 1C620128
	s_add_u32 m0, 0, s43                                       // 000000003330: 807C2B80
	buffer_load_dword v15, s[4:7], 0 offen lds                 // 000000003334: E0511000 8001000F
	v_mfma_f32_16x16x16_bf16 v[24:27], a[42:43], a[2:3], v[24:27]// 00000000333C: D3E10018 1C62052A
	s_add_u32 m0, 0x100, s43                                   // 000000003344: 807C2BFF 00000100
	buffer_load_dword v16, s[4:7], 0 offen lds                 // 00000000334C: E0511000 80010010
	ds_read_b128 a[16:19], v19 offset:8448                     // 000000003354: DBFE2100 10000013
	ds_read_b128 a[20:23], v19 offset:8512                     // 00000000335C: DBFE2140 14000013
	v_mfma_f32_16x16x16_bf16 v[24:27], a[44:45], a[4:5], v[24:27]// 000000003364: D3E10018 1C62092C
	s_add_u32 m0, 0x200, s43                                   // 00000000336C: 807C2BFF 00000200
	buffer_load_dword v17, s[4:7], 0 offen lds                 // 000000003374: E0511000 80010011
	v_mfma_f32_16x16x16_bf16 v[24:27], a[46:47], a[6:7], v[24:27]// 00000000337C: D3E10018 1C620D2E
	s_add_u32 m0, 0x300, s43                                   // 000000003384: 807C2BFF 00000300
	buffer_load_dword v18, s[4:7], 0 offen lds                 // 00000000338C: E0511000 80010012
	ds_read_b128 a[24:27], v19 offset:8960                     // 000000003394: DBFE2300 18000013
	ds_read_b128 a[28:31], v19 offset:9024                     // 00000000339C: DBFE2340 1C000013
	v_mfma_f32_16x16x16_bf16 v[28:31], a[40:41], a[8:9], v[28:31]// 0000000033A4: D3E1001C 1C721128
	s_add_u32 s31, 0x100, s33                                  // 0000000033AC: 801F21FF 00000100
	s_cmp_lt_u32 s31, s34                                      // 0000000033B4: BF0A221F
	s_cselect_b32 s40, s40, 0                                  // 0000000033B8: 85288028
	buffer_load_dwordx4 a[32:35], v20, s[8:11], 0 offen        // 0000000033BC: E05C1000 80822014
	v_mfma_f32_16x16x16_bf16 v[28:31], a[42:43], a[10:11], v[28:31]// 0000000033C4: D3E1001C 1C72152A
	buffer_load_dwordx4 a[36:39], v21, s[8:11], 0 offen        // 0000000033CC: E05C1000 80822415
	s_add_u32 s4, s40, s4                                      // 0000000033D4: 80040428
	s_addc_u32 s5, 0, s5                                       // 0000000033D8: 82050580
	v_mfma_f32_16x16x16_bf16 v[28:31], a[44:45], a[12:13], v[28:31]// 0000000033DC: D3E1001C 1C72192C
	s_add_u32 s31, 0xc0, s33                                   // 0000000033E4: 801F21FF 000000C0
	s_cmp_lt_u32 s31, s34                                      // 0000000033EC: BF0A221F
	s_cselect_b32 s41, s41, 0                                  // 0000000033F0: 85298029
	v_mfma_f32_16x16x16_bf16 v[28:31], a[46:47], a[14:15], v[28:31]// 0000000033F4: D3E1001C 1C721D2E
	s_add_u32 s8, s41, s8                                      // 0000000033FC: 80080829
	s_addc_u32 s9, 0, s9                                       // 000000003400: 82090980
	s_addk_i32 s33, 0x40                                       // 000000003404: B7210040
	s_cmp_lt_i32 s33, s34                                      // 000000003408: BF042221
	s_cbranch_scc0 label_046A                                  // 00000000340C: BF8401A6
	s_waitcnt vmcnt(6) lgkmcnt(0)                              // 000000003410: BF8C0076
	s_barrier                                                  // 000000003414: BF8A0000
	v_mfma_f32_16x16x16_bf16 v[24:27], a[48:49], a[16:17], v[24:27]// 000000003418: D3E10018 1C622130
	s_add_u32 m0, 0, s44                                       // 000000003420: 807C2C80
	buffer_load_dword v15, s[4:7], 0 offen lds                 // 000000003424: E0511000 8001000F
	v_mfma_f32_16x16x16_bf16 v[24:27], a[50:51], a[18:19], v[24:27]// 00000000342C: D3E10018 1C622532
	s_add_u32 m0, 0x100, s44                                   // 000000003434: 807C2CFF 00000100
	buffer_load_dword v16, s[4:7], 0 offen lds                 // 00000000343C: E0511000 80010010
	ds_read_b128 a[0:3], v19                                   // 000000003444: DBFE0000 00000013
	ds_read_b128 a[4:7], v19 offset:64                         // 00000000344C: DBFE0040 04000013
	v_mfma_f32_16x16x16_bf16 v[24:27], a[52:53], a[20:21], v[24:27]// 000000003454: D3E10018 1C622934
	s_add_u32 m0, 0x200, s44                                   // 00000000345C: 807C2CFF 00000200
	buffer_load_dword v17, s[4:7], 0 offen lds                 // 000000003464: E0511000 80010011
	v_mfma_f32_16x16x16_bf16 v[24:27], a[54:55], a[22:23], v[24:27]// 00000000346C: D3E10018 1C622D36
	s_add_u32 m0, 0x300, s44                                   // 000000003474: 807C2CFF 00000300
	buffer_load_dword v18, s[4:7], 0 offen lds                 // 00000000347C: E0511000 80010012
	ds_read_b128 a[8:11], v19 offset:512                       // 000000003484: DBFE0200 08000013
	ds_read_b128 a[12:15], v19 offset:576                      // 00000000348C: DBFE0240 0C000013
	v_mfma_f32_16x16x16_bf16 v[28:31], a[48:49], a[24:25], v[28:31]// 000000003494: D3E1001C 1C723130
	s_add_u32 s31, 0x100, s33                                  // 00000000349C: 801F21FF 00000100
	s_cmp_lt_u32 s31, s34                                      // 0000000034A4: BF0A221F
	s_cselect_b32 s40, s40, 0                                  // 0000000034A8: 85288028
	buffer_load_dwordx4 a[40:43], v20, s[8:11], 0 offen        // 0000000034AC: E05C1000 80822814
	v_mfma_f32_16x16x16_bf16 v[28:31], a[50:51], a[26:27], v[28:31]// 0000000034B4: D3E1001C 1C723532
	buffer_load_dwordx4 a[44:47], v21, s[8:11], 0 offen        // 0000000034BC: E05C1000 80822C15
	s_add_u32 s4, s40, s4                                      // 0000000034C4: 80040428
	s_addc_u32 s5, 0, s5                                       // 0000000034C8: 82050580
	v_mfma_f32_16x16x16_bf16 v[28:31], a[52:53], a[28:29], v[28:31]// 0000000034CC: D3E1001C 1C723934
	s_add_u32 s31, 0xc0, s33                                   // 0000000034D4: 801F21FF 000000C0
	s_cmp_lt_u32 s31, s34                                      // 0000000034DC: BF0A221F
	s_cselect_b32 s41, s41, 0                                  // 0000000034E0: 85298029
	v_mfma_f32_16x16x16_bf16 v[28:31], a[54:55], a[30:31], v[28:31]// 0000000034E4: D3E1001C 1C723D36
	s_add_u32 s8, s41, s8                                      // 0000000034EC: 80080829
	s_addc_u32 s9, 0, s9                                       // 0000000034F0: 82090980
	s_addk_i32 s33, 0x40                                       // 0000000034F4: B7210040
	s_cmp_lt_i32 s33, s34                                      // 0000000034F8: BF042221
	s_cbranch_scc0 label_046A                                  // 0000000034FC: BF84016A
	s_branch label_0198                                        // 000000003500: BF82FE97

0000000000003504 <label_0301>:
	s_waitcnt vmcnt(6) lgkmcnt(0)                              // 000000003504: BF8C0076
	s_barrier                                                  // 000000003508: BF8A0000
	v_mfma_f32_16x16x16_bf16 v[24:27], a[32:33], a[0:1], v[24:27]// 00000000350C: D3E10018 1C620120
	s_add_u32 m0, 0, s42                                       // 000000003514: 807C2A80
	buffer_load_dword v15, s[4:7], 0 offen lds                 // 000000003518: E0511000 8001000F
	ds_read_b128 a[16:19], v19 offset:4224                     // 000000003520: DBFE1080 10000013
	ds_read_b128 a[20:23], v19 offset:4288                     // 000000003528: DBFE10C0 14000013
	v_mfma_f32_16x16x16_bf16 v[24:27], a[34:35], a[2:3], v[24:27]// 000000003530: D3E10018 1C620522
	s_add_u32 m0, 0x100, s42                                   // 000000003538: 807C2AFF 00000100
	buffer_load_dword v16, s[4:7], 0 offen lds                 // 000000003540: E0511000 80010010
	v_mfma_f32_16x16x16_bf16 v[24:27], a[36:37], a[4:5], v[24:27]// 000000003548: D3E10018 1C620924
	s_add_u32 m0, 0x200, s42                                   // 000000003550: 807C2AFF 00000200
	buffer_load_dword v17, s[4:7], 0 offen lds                 // 000000003558: E0511000 80010011
	ds_read_b128 a[24:27], v19 offset:4736                     // 000000003560: DBFE1280 18000013
	ds_read_b128 a[28:31], v19 offset:4800                     // 000000003568: DBFE12C0 1C000013
	v_mfma_f32_16x16x16_bf16 v[24:27], a[38:39], a[6:7], v[24:27]// 000000003570: D3E10018 1C620D26
	s_add_u32 m0, 0x300, s42                                   // 000000003578: 807C2AFF 00000300
	buffer_load_dword v18, s[4:7], 0 offen lds                 // 000000003580: E0511000 80010012
	v_mfma_f32_16x16x16_bf16 v[28:31], a[32:33], a[8:9], v[28:31]// 000000003588: D3E1001C 1C721120
	s_add_u32 s31, 0x100, s33                                  // 000000003590: 801F21FF 00000100
	s_cmp_lt_u32 s31, s34                                      // 000000003598: BF0A221F
	s_cselect_b32 s40, s40, 0                                  // 00000000359C: 85288028
	buffer_load_dwordx4 a[48:51], v20, s[8:11], 0 offen        // 0000000035A0: E05C1000 80823014
	s_add_u32 s4, s40, s4                                      // 0000000035A8: 80040428
	s_addc_u32 s5, 0, s5                                       // 0000000035AC: 82050580
	v_mfma_f32_16x16x16_bf16 v[28:31], a[34:35], a[10:11], v[28:31]// 0000000035B0: D3E1001C 1C721522
	buffer_load_dwordx4 a[52:55], v21, s[8:11], 0 offen        // 0000000035B8: E05C1000 80823415
	v_mfma_f32_16x16x16_bf16 v[28:31], a[36:37], a[12:13], v[28:31]// 0000000035C0: D3E1001C 1C721924
	s_add_u32 s31, 0xc0, s33                                   // 0000000035C8: 801F21FF 000000C0
	s_cmp_lt_u32 s31, s34                                      // 0000000035D0: BF0A221F
	s_cselect_b32 s41, s41, 0                                  // 0000000035D4: 85298029
	s_add_u32 s8, s41, s8                                      // 0000000035D8: 80080829
	s_addc_u32 s9, 0, s9                                       // 0000000035DC: 82090980
	v_mfma_f32_16x16x16_bf16 v[28:31], a[38:39], a[14:15], v[28:31]// 0000000035E0: D3E1001C 1C721D26
	s_addk_i32 s33, 0x40                                       // 0000000035E8: B7210040
	s_cmp_lt_i32 s33, s34                                      // 0000000035EC: BF042221
	s_cbranch_scc0 label_046A                                  // 0000000035F0: BF84012D
	s_waitcnt vmcnt(6) lgkmcnt(0)                              // 0000000035F4: BF8C0076
	s_barrier                                                  // 0000000035F8: BF8A0000
	v_mfma_f32_16x16x16_bf16 v[24:27], a[40:41], a[16:17], v[24:27]// 0000000035FC: D3E10018 1C622128
	s_add_u32 m0, 0, s43                                       // 000000003604: 807C2B80
	buffer_load_dword v15, s[4:7], 0 offen lds                 // 000000003608: E0511000 8001000F
	ds_read_b128 a[0:3], v19 offset:8448                       // 000000003610: DBFE2100 00000013
	ds_read_b128 a[4:7], v19 offset:8512                       // 000000003618: DBFE2140 04000013
	v_mfma_f32_16x16x16_bf16 v[24:27], a[42:43], a[18:19], v[24:27]// 000000003620: D3E10018 1C62252A
	s_add_u32 m0, 0x100, s43                                   // 000000003628: 807C2BFF 00000100
	buffer_load_dword v16, s[4:7], 0 offen lds                 // 000000003630: E0511000 80010010
	v_mfma_f32_16x16x16_bf16 v[24:27], a[44:45], a[20:21], v[24:27]// 000000003638: D3E10018 1C62292C
	s_add_u32 m0, 0x200, s43                                   // 000000003640: 807C2BFF 00000200
	buffer_load_dword v17, s[4:7], 0 offen lds                 // 000000003648: E0511000 80010011
	ds_read_b128 a[8:11], v19 offset:8960                      // 000000003650: DBFE2300 08000013
	ds_read_b128 a[12:15], v19 offset:9024                     // 000000003658: DBFE2340 0C000013
	v_mfma_f32_16x16x16_bf16 v[24:27], a[46:47], a[22:23], v[24:27]// 000000003660: D3E10018 1C622D2E
	s_add_u32 m0, 0x300, s43                                   // 000000003668: 807C2BFF 00000300
	buffer_load_dword v18, s[4:7], 0 offen lds                 // 000000003670: E0511000 80010012
	v_mfma_f32_16x16x16_bf16 v[28:31], a[40:41], a[24:25], v[28:31]// 000000003678: D3E1001C 1C723128
	s_add_u32 s31, 0x100, s33                                  // 000000003680: 801F21FF 00000100
	s_cmp_lt_u32 s31, s34                                      // 000000003688: BF0A221F
	s_cselect_b32 s40, s40, 0                                  // 00000000368C: 85288028
	buffer_load_dwordx4 a[32:35], v20, s[8:11], 0 offen        // 000000003690: E05C1000 80822014
	s_add_u32 s4, s40, s4                                      // 000000003698: 80040428
	s_addc_u32 s5, 0, s5                                       // 00000000369C: 82050580
	v_mfma_f32_16x16x16_bf16 v[28:31], a[42:43], a[26:27], v[28:31]// 0000000036A0: D3E1001C 1C72352A
	buffer_load_dwordx4 a[36:39], v21, s[8:11], 0 offen        // 0000000036A8: E05C1000 80822415
	v_mfma_f32_16x16x16_bf16 v[28:31], a[44:45], a[28:29], v[28:31]// 0000000036B0: D3E1001C 1C72392C
	s_add_u32 s31, 0xc0, s33                                   // 0000000036B8: 801F21FF 000000C0
	s_cmp_lt_u32 s31, s34                                      // 0000000036C0: BF0A221F
	s_cselect_b32 s41, s41, 0                                  // 0000000036C4: 85298029
	s_add_u32 s8, s41, s8                                      // 0000000036C8: 80080829
	s_addc_u32 s9, 0, s9                                       // 0000000036CC: 82090980
	v_mfma_f32_16x16x16_bf16 v[28:31], a[46:47], a[30:31], v[28:31]// 0000000036D0: D3E1001C 1C723D2E
	s_addk_i32 s33, 0x40                                       // 0000000036D8: B7210040
	s_cmp_lt_i32 s33, s34                                      // 0000000036DC: BF042221
	s_cbranch_scc0 label_046A                                  // 0000000036E0: BF8400F1
	s_waitcnt vmcnt(6) lgkmcnt(0)                              // 0000000036E4: BF8C0076
	s_barrier                                                  // 0000000036E8: BF8A0000
	v_mfma_f32_16x16x16_bf16 v[24:27], a[48:49], a[0:1], v[24:27]// 0000000036EC: D3E10018 1C620130
	s_add_u32 m0, 0, s44                                       // 0000000036F4: 807C2C80
	buffer_load_dword v15, s[4:7], 0 offen lds                 // 0000000036F8: E0511000 8001000F
	ds_read_b128 a[16:19], v19                                 // 000000003700: DBFE0000 10000013
	ds_read_b128 a[20:23], v19 offset:64                       // 000000003708: DBFE0040 14000013
	v_mfma_f32_16x16x16_bf16 v[24:27], a[50:51], a[2:3], v[24:27]// 000000003710: D3E10018 1C620532
	s_add_u32 m0, 0x100, s44                                   // 000000003718: 807C2CFF 00000100
	buffer_load_dword v16, s[4:7], 0 offen lds                 // 000000003720: E0511000 80010010
	v_mfma_f32_16x16x16_bf16 v[24:27], a[52:53], a[4:5], v[24:27]// 000000003728: D3E10018 1C620934
	s_add_u32 m0, 0x200, s44                                   // 000000003730: 807C2CFF 00000200
	buffer_load_dword v17, s[4:7], 0 offen lds                 // 000000003738: E0511000 80010011
	ds_read_b128 a[24:27], v19 offset:512                      // 000000003740: DBFE0200 18000013
	ds_read_b128 a[28:31], v19 offset:576                      // 000000003748: DBFE0240 1C000013
	v_mfma_f32_16x16x16_bf16 v[24:27], a[54:55], a[6:7], v[24:27]// 000000003750: D3E10018 1C620D36
	s_add_u32 m0, 0x300, s44                                   // 000000003758: 807C2CFF 00000300
	buffer_load_dword v18, s[4:7], 0 offen lds                 // 000000003760: E0511000 80010012
	v_mfma_f32_16x16x16_bf16 v[28:31], a[48:49], a[8:9], v[28:31]// 000000003768: D3E1001C 1C721130
	s_add_u32 s31, 0x100, s33                                  // 000000003770: 801F21FF 00000100
	s_cmp_lt_u32 s31, s34                                      // 000000003778: BF0A221F
	s_cselect_b32 s40, s40, 0                                  // 00000000377C: 85288028
	buffer_load_dwordx4 a[40:43], v20, s[8:11], 0 offen        // 000000003780: E05C1000 80822814
	s_add_u32 s4, s40, s4                                      // 000000003788: 80040428
	s_addc_u32 s5, 0, s5                                       // 00000000378C: 82050580
	v_mfma_f32_16x16x16_bf16 v[28:31], a[50:51], a[10:11], v[28:31]// 000000003790: D3E1001C 1C721532
	buffer_load_dwordx4 a[44:47], v21, s[8:11], 0 offen        // 000000003798: E05C1000 80822C15
	v_mfma_f32_16x16x16_bf16 v[28:31], a[52:53], a[12:13], v[28:31]// 0000000037A0: D3E1001C 1C721934
	s_add_u32 s31, 0xc0, s33                                   // 0000000037A8: 801F21FF 000000C0
	s_cmp_lt_u32 s31, s34                                      // 0000000037B0: BF0A221F
	s_cselect_b32 s41, s41, 0                                  // 0000000037B4: 85298029
	s_add_u32 s8, s41, s8                                      // 0000000037B8: 80080829
	s_addc_u32 s9, 0, s9                                       // 0000000037BC: 82090980
	v_mfma_f32_16x16x16_bf16 v[28:31], a[54:55], a[14:15], v[28:31]// 0000000037C0: D3E1001C 1C721D36
	s_addk_i32 s33, 0x40                                       // 0000000037C8: B7210040
	s_cmp_lt_i32 s33, s34                                      // 0000000037CC: BF042221
	s_cbranch_scc0 label_046A                                  // 0000000037D0: BF8400B5
	s_waitcnt vmcnt(6) lgkmcnt(0)                              // 0000000037D4: BF8C0076
	s_barrier                                                  // 0000000037D8: BF8A0000
	v_mfma_f32_16x16x16_bf16 v[24:27], a[32:33], a[16:17], v[24:27]// 0000000037DC: D3E10018 1C622120
	s_add_u32 m0, 0, s42                                       // 0000000037E4: 807C2A80
	buffer_load_dword v15, s[4:7], 0 offen lds                 // 0000000037E8: E0511000 8001000F
	ds_read_b128 a[0:3], v19 offset:4224                       // 0000000037F0: DBFE1080 00000013
	ds_read_b128 a[4:7], v19 offset:4288                       // 0000000037F8: DBFE10C0 04000013
	v_mfma_f32_16x16x16_bf16 v[24:27], a[34:35], a[18:19], v[24:27]// 000000003800: D3E10018 1C622522
	s_add_u32 m0, 0x100, s42                                   // 000000003808: 807C2AFF 00000100
	buffer_load_dword v16, s[4:7], 0 offen lds                 // 000000003810: E0511000 80010010
	v_mfma_f32_16x16x16_bf16 v[24:27], a[36:37], a[20:21], v[24:27]// 000000003818: D3E10018 1C622924
	s_add_u32 m0, 0x200, s42                                   // 000000003820: 807C2AFF 00000200
	buffer_load_dword v17, s[4:7], 0 offen lds                 // 000000003828: E0511000 80010011
	ds_read_b128 a[8:11], v19 offset:4736                      // 000000003830: DBFE1280 08000013
	ds_read_b128 a[12:15], v19 offset:4800                     // 000000003838: DBFE12C0 0C000013
	v_mfma_f32_16x16x16_bf16 v[24:27], a[38:39], a[22:23], v[24:27]// 000000003840: D3E10018 1C622D26
	s_add_u32 m0, 0x300, s42                                   // 000000003848: 807C2AFF 00000300
	buffer_load_dword v18, s[4:7], 0 offen lds                 // 000000003850: E0511000 80010012
	v_mfma_f32_16x16x16_bf16 v[28:31], a[32:33], a[24:25], v[28:31]// 000000003858: D3E1001C 1C723120
	s_add_u32 s31, 0x100, s33                                  // 000000003860: 801F21FF 00000100
	s_cmp_lt_u32 s31, s34                                      // 000000003868: BF0A221F
	s_cselect_b32 s40, s40, 0                                  // 00000000386C: 85288028
	buffer_load_dwordx4 a[48:51], v20, s[8:11], 0 offen        // 000000003870: E05C1000 80823014
	s_add_u32 s4, s40, s4                                      // 000000003878: 80040428
	s_addc_u32 s5, 0, s5                                       // 00000000387C: 82050580
	v_mfma_f32_16x16x16_bf16 v[28:31], a[34:35], a[26:27], v[28:31]// 000000003880: D3E1001C 1C723522
	buffer_load_dwordx4 a[52:55], v21, s[8:11], 0 offen        // 000000003888: E05C1000 80823415
	v_mfma_f32_16x16x16_bf16 v[28:31], a[36:37], a[28:29], v[28:31]// 000000003890: D3E1001C 1C723924
	s_add_u32 s31, 0xc0, s33                                   // 000000003898: 801F21FF 000000C0
	s_cmp_lt_u32 s31, s34                                      // 0000000038A0: BF0A221F
	s_cselect_b32 s41, s41, 0                                  // 0000000038A4: 85298029
	s_add_u32 s8, s41, s8                                      // 0000000038A8: 80080829
	s_addc_u32 s9, 0, s9                                       // 0000000038AC: 82090980
	v_mfma_f32_16x16x16_bf16 v[28:31], a[38:39], a[30:31], v[28:31]// 0000000038B0: D3E1001C 1C723D26
	s_addk_i32 s33, 0x40                                       // 0000000038B8: B7210040
	s_cmp_lt_i32 s33, s34                                      // 0000000038BC: BF042221
	s_cbranch_scc0 label_046A                                  // 0000000038C0: BF840079
	s_waitcnt vmcnt(6) lgkmcnt(0)                              // 0000000038C4: BF8C0076
	s_barrier                                                  // 0000000038C8: BF8A0000
	v_mfma_f32_16x16x16_bf16 v[24:27], a[40:41], a[0:1], v[24:27]// 0000000038CC: D3E10018 1C620128
	s_add_u32 m0, 0, s43                                       // 0000000038D4: 807C2B80
	buffer_load_dword v15, s[4:7], 0 offen lds                 // 0000000038D8: E0511000 8001000F
	ds_read_b128 a[16:19], v19 offset:8448                     // 0000000038E0: DBFE2100 10000013
	ds_read_b128 a[20:23], v19 offset:8512                     // 0000000038E8: DBFE2140 14000013
	v_mfma_f32_16x16x16_bf16 v[24:27], a[42:43], a[2:3], v[24:27]// 0000000038F0: D3E10018 1C62052A
	s_add_u32 m0, 0x100, s43                                   // 0000000038F8: 807C2BFF 00000100
	buffer_load_dword v16, s[4:7], 0 offen lds                 // 000000003900: E0511000 80010010
	v_mfma_f32_16x16x16_bf16 v[24:27], a[44:45], a[4:5], v[24:27]// 000000003908: D3E10018 1C62092C
	s_add_u32 m0, 0x200, s43                                   // 000000003910: 807C2BFF 00000200
	buffer_load_dword v17, s[4:7], 0 offen lds                 // 000000003918: E0511000 80010011
	ds_read_b128 a[24:27], v19 offset:8960                     // 000000003920: DBFE2300 18000013
	ds_read_b128 a[28:31], v19 offset:9024                     // 000000003928: DBFE2340 1C000013
	v_mfma_f32_16x16x16_bf16 v[24:27], a[46:47], a[6:7], v[24:27]// 000000003930: D3E10018 1C620D2E
	s_add_u32 m0, 0x300, s43                                   // 000000003938: 807C2BFF 00000300
	buffer_load_dword v18, s[4:7], 0 offen lds                 // 000000003940: E0511000 80010012
	v_mfma_f32_16x16x16_bf16 v[28:31], a[40:41], a[8:9], v[28:31]// 000000003948: D3E1001C 1C721128
	s_add_u32 s31, 0x100, s33                                  // 000000003950: 801F21FF 00000100
	s_cmp_lt_u32 s31, s34                                      // 000000003958: BF0A221F
	s_cselect_b32 s40, s40, 0                                  // 00000000395C: 85288028
	buffer_load_dwordx4 a[32:35], v20, s[8:11], 0 offen        // 000000003960: E05C1000 80822014
	s_add_u32 s4, s40, s4                                      // 000000003968: 80040428
	s_addc_u32 s5, 0, s5                                       // 00000000396C: 82050580
	v_mfma_f32_16x16x16_bf16 v[28:31], a[42:43], a[10:11], v[28:31]// 000000003970: D3E1001C 1C72152A
	buffer_load_dwordx4 a[36:39], v21, s[8:11], 0 offen        // 000000003978: E05C1000 80822415
	v_mfma_f32_16x16x16_bf16 v[28:31], a[44:45], a[12:13], v[28:31]// 000000003980: D3E1001C 1C72192C
	s_add_u32 s31, 0xc0, s33                                   // 000000003988: 801F21FF 000000C0
	s_cmp_lt_u32 s31, s34                                      // 000000003990: BF0A221F
	s_cselect_b32 s41, s41, 0                                  // 000000003994: 85298029
	s_add_u32 s8, s41, s8                                      // 000000003998: 80080829
	s_addc_u32 s9, 0, s9                                       // 00000000399C: 82090980
	v_mfma_f32_16x16x16_bf16 v[28:31], a[46:47], a[14:15], v[28:31]// 0000000039A0: D3E1001C 1C721D2E
	s_addk_i32 s33, 0x40                                       // 0000000039A8: B7210040
	s_cmp_lt_i32 s33, s34                                      // 0000000039AC: BF042221
	s_cbranch_scc0 label_046A                                  // 0000000039B0: BF84003D
	s_waitcnt vmcnt(6) lgkmcnt(0)                              // 0000000039B4: BF8C0076
	s_barrier                                                  // 0000000039B8: BF8A0000
	v_mfma_f32_16x16x16_bf16 v[24:27], a[48:49], a[16:17], v[24:27]// 0000000039BC: D3E10018 1C622130
	s_add_u32 m0, 0, s44                                       // 0000000039C4: 807C2C80
	buffer_load_dword v15, s[4:7], 0 offen lds                 // 0000000039C8: E0511000 8001000F
	ds_read_b128 a[0:3], v19                                   // 0000000039D0: DBFE0000 00000013
	ds_read_b128 a[4:7], v19 offset:64                         // 0000000039D8: DBFE0040 04000013
	v_mfma_f32_16x16x16_bf16 v[24:27], a[50:51], a[18:19], v[24:27]// 0000000039E0: D3E10018 1C622532
	s_add_u32 m0, 0x100, s44                                   // 0000000039E8: 807C2CFF 00000100
	buffer_load_dword v16, s[4:7], 0 offen lds                 // 0000000039F0: E0511000 80010010
	v_mfma_f32_16x16x16_bf16 v[24:27], a[52:53], a[20:21], v[24:27]// 0000000039F8: D3E10018 1C622934
	s_add_u32 m0, 0x200, s44                                   // 000000003A00: 807C2CFF 00000200
	buffer_load_dword v17, s[4:7], 0 offen lds                 // 000000003A08: E0511000 80010011
	ds_read_b128 a[8:11], v19 offset:512                       // 000000003A10: DBFE0200 08000013
	ds_read_b128 a[12:15], v19 offset:576                      // 000000003A18: DBFE0240 0C000013
	v_mfma_f32_16x16x16_bf16 v[24:27], a[54:55], a[22:23], v[24:27]// 000000003A20: D3E10018 1C622D36
	s_add_u32 m0, 0x300, s44                                   // 000000003A28: 807C2CFF 00000300
	buffer_load_dword v18, s[4:7], 0 offen lds                 // 000000003A30: E0511000 80010012
	v_mfma_f32_16x16x16_bf16 v[28:31], a[48:49], a[24:25], v[28:31]// 000000003A38: D3E1001C 1C723130
	s_add_u32 s31, 0x100, s33                                  // 000000003A40: 801F21FF 00000100
	s_cmp_lt_u32 s31, s34                                      // 000000003A48: BF0A221F
	s_cselect_b32 s40, s40, 0                                  // 000000003A4C: 85288028
	buffer_load_dwordx4 a[40:43], v20, s[8:11], 0 offen        // 000000003A50: E05C1000 80822814
	s_add_u32 s4, s40, s4                                      // 000000003A58: 80040428
	s_addc_u32 s5, 0, s5                                       // 000000003A5C: 82050580
	v_mfma_f32_16x16x16_bf16 v[28:31], a[50:51], a[26:27], v[28:31]// 000000003A60: D3E1001C 1C723532
	buffer_load_dwordx4 a[44:47], v21, s[8:11], 0 offen        // 000000003A68: E05C1000 80822C15
	v_mfma_f32_16x16x16_bf16 v[28:31], a[52:53], a[28:29], v[28:31]// 000000003A70: D3E1001C 1C723934
	s_add_u32 s31, 0xc0, s33                                   // 000000003A78: 801F21FF 000000C0
	s_cmp_lt_u32 s31, s34                                      // 000000003A80: BF0A221F
	s_cselect_b32 s41, s41, 0                                  // 000000003A84: 85298029
	s_add_u32 s8, s41, s8                                      // 000000003A88: 80080829
	s_addc_u32 s9, 0, s9                                       // 000000003A8C: 82090980
	v_mfma_f32_16x16x16_bf16 v[28:31], a[54:55], a[30:31], v[28:31]// 000000003A90: D3E1001C 1C723D36
	s_addk_i32 s33, 0x40                                       // 000000003A98: B7210040
	s_cmp_lt_i32 s33, s34                                      // 000000003A9C: BF042221
	s_cbranch_scc0 label_046A                                  // 000000003AA0: BF840001
	s_branch label_0301                                        // 000000003AA4: BF82FE97

0000000000003aa8 <label_046A>:
	s_cmp_le_u32 s48, 1                                        // 000000003AA8: BF0B8130
	s_cbranch_scc1 label_0661                                  // 000000003AAC: BF8501F5
	s_mov_b32 s31, 32                                          // 000000003AB0: BE9F00A0
	s_cmp_lt_u32 s51, s31                                      // 000000003AB4: BF0A1F33
	s_cbranch_scc1 label_0534                                  // 000000003AB8: BF8500C5
	v_mov_b32_e32 v5, 0                                        // 000000003ABC: 7E0A0280
	s_and_b32 s17, s17, 0xffff                                 // 000000003AC0: 8611FF11 0000FFFF
	s_cmp_lt_u32 s50, 1                                        // 000000003AC8: BF0A8132
	s_cbranch_scc0 label_04C3                                  // 000000003ACC: BF84004F
	v_lshrrev_b32_e32 v4, 4, v0                                // 000000003AD0: 20080084
	v_mul_u32_u24_e32 v19, 0x44, v4                            // 000000003AD4: 102608FF 00000044
	v_and_b32_e32 v4, 15, v0                                   // 000000003ADC: 2608008F
	v_mul_lo_u32 v5, 4, v4                                     // 000000003AE0: D2850005 00020884
	v_add_u32_e32 v19, v5, v19                                 // 000000003AE8: 68262705
	s_mul_i32 s31, s24, 0x110                                  // 000000003AEC: 921FFF18 00000110
	v_add_u32_e32 v19, s31, v19                                // 000000003AF4: 6826261F
	v_lshlrev_b32_e32 v19, 2, v19                              // 000000003AF8: 24262682
	v_lshrrev_b32_e32 v4, 2, v0                                // 000000003AFC: 20080082
	v_mul_u32_u24_e32 v22, 0x44, v4                            // 000000003B00: 102C08FF 00000044
	v_and_b32_e32 v4, 3, v0                                    // 000000003B08: 26080083
	v_add_u32_e32 v22, v4, v22                                 // 000000003B0C: 682C2D04
	s_mul_i32 s31, s24, 4                                      // 000000003B10: 921F8418
	v_add_u32_e32 v22, s31, v22                                // 000000003B14: 682C2C1F
	v_lshlrev_b32_e32 v22, 2, v22                              // 000000003B18: 242C2C82
	s_waitcnt vmcnt(0) expcnt(0) lgkmcnt(0)                    // 000000003B1C: BF8C0000
	s_barrier                                                  // 000000003B20: BF8A0000
	ds_write_b128 v19, v[24:27]                                // 000000003B24: D9BE0000 00001813
	ds_write_b128 v19, v[28:31] offset:4352                    // 000000003B2C: D9BE1100 00001C13
	s_waitcnt lgkmcnt(0)                                       // 000000003B34: BF8CC07F
	s_barrier                                                  // 000000003B38: BF8A0000
	ds_read_b32 v24, v22                                       // 000000003B3C: D86C0000 18000016
	ds_read_b32 v25, v22 offset:64                             // 000000003B44: D86C0040 19000016
	ds_read_b32 v26, v22 offset:128                            // 000000003B4C: D86C0080 1A000016
	ds_read_b32 v27, v22 offset:192                            // 000000003B54: D86C00C0 1B000016
	ds_read_b32 v28, v22 offset:4352                           // 000000003B5C: D86C1100 1C000016
	ds_read_b32 v29, v22 offset:4416                           // 000000003B64: D86C1140 1D000016
	ds_read_b32 v30, v22 offset:4480                           // 000000003B6C: D86C1180 1E000016
	ds_read_b32 v31, v22 offset:4544                           // 000000003B74: D86C11C0 1F000016
	s_waitcnt lgkmcnt(0)                                       // 000000003B7C: BF8CC07F
	s_mul_i32 s31, s30, 4                                      // 000000003B80: 921F841E
	v_mov_b32_e32 v4, v14                                      // 000000003B84: 7E08030E
	global_atomic_add_f32 v4, v24, s[16:17]                    // 000000003B88: DD348000 00101804
	v_add_u32_e64 v4, v4, s31                                  // 000000003B90: D1340004 00003F04
	global_atomic_add_f32 v4, v25, s[16:17]                    // 000000003B98: DD348000 00101904
	v_add_u32_e64 v4, v4, s31                                  // 000000003BA0: D1340004 00003F04
	global_atomic_add_f32 v4, v26, s[16:17]                    // 000000003BA8: DD348000 00101A04
	v_add_u32_e64 v4, v4, s31                                  // 000000003BB0: D1340004 00003F04
	global_atomic_add_f32 v4, v27, s[16:17]                    // 000000003BB8: DD348000 00101B04
	v_add_u32_e64 v4, v4, s31                                  // 000000003BC0: D1340004 00003F04
	global_atomic_add_f32 v4, v28, s[16:17]                    // 000000003BC8: DD348000 00101C04
	v_add_u32_e64 v4, v4, s31                                  // 000000003BD0: D1340004 00003F04
	global_atomic_add_f32 v4, v29, s[16:17]                    // 000000003BD8: DD348000 00101D04
	v_add_u32_e64 v4, v4, s31                                  // 000000003BE0: D1340004 00003F04
	global_atomic_add_f32 v4, v30, s[16:17]                    // 000000003BE8: DD348000 00101E04
	v_add_u32_e64 v4, v4, s31                                  // 000000003BF0: D1340004 00003F04
	global_atomic_add_f32 v4, v31, s[16:17]                    // 000000003BF8: DD348000 00101F04
	v_add_u32_e64 v4, v4, s31                                  // 000000003C00: D1340004 00003F04
	s_branch label_06A4                                        // 000000003C08: BF8201E1

0000000000003c0c <label_04C3>:
	v_lshrrev_b32_e32 v4, 4, v0                                // 000000003C0C: 20080084
	v_mul_u32_u24_e32 v19, 34, v4                              // 000000003C10: 102608A2
	v_and_b32_e32 v4, 15, v0                                   // 000000003C14: 2608008F
	v_mul_lo_u32 v5, 2, v4                                     // 000000003C18: D2850005 00020882
	v_add_u32_e32 v19, v5, v19                                 // 000000003C20: 68262705
	s_mul_i32 s31, s24, 0x88                                   // 000000003C24: 921FFF18 00000088
	v_add_u32_e32 v19, s31, v19                                // 000000003C2C: 6826261F
	v_lshlrev_b32_e32 v19, 2, v19                              // 000000003C30: 24262682
	v_and_b32_e32 v4, 31, v0                                   // 000000003C34: 2608009F
	v_lshrrev_b32_e32 v5, 1, v4                                // 000000003C38: 200A0881
	v_mul_u32_u24_e32 v22, 34, v5                              // 000000003C3C: 102C0AA2
	v_and_b32_e32 v5, 1, v4                                    // 000000003C40: 260A0881
	v_add_u32_e32 v22, v5, v22                                 // 000000003C44: 682C2D05
	v_lshrrev_b32_e32 v4, 5, v0                                // 000000003C48: 20080085
	v_mul_u32_u24_e32 v4, 8, v4                                // 000000003C4C: 10080888
	v_add_u32_e32 v22, v4, v22                                 // 000000003C50: 682C2D04
	s_mul_i32 s31, s24, 2                                      // 000000003C54: 921F8218
	v_add_u32_e32 v22, s31, v22                                // 000000003C58: 682C2C1F
	v_lshlrev_b32_e32 v22, 2, v22                              // 000000003C5C: 242C2C82
	s_waitcnt vmcnt(0) expcnt(0) lgkmcnt(0)                    // 000000003C60: BF8C0000
	s_barrier                                                  // 000000003C64: BF8A0000
	v_cmp_u_f32_e64 s[56:57], v24, v24                         // 000000003C68: D0480038 00023118
	v_add3_u32 v8, v24, v11, 1                                 // 000000003C70: D1FF0008 02061718
	v_cndmask_b32_e64 v4, v8, v10, s[56:57]                    // 000000003C78: D1000004 00E21508
	v_cmp_u_f32_e64 s[56:57], v25, v25                         // 000000003C80: D0480038 00023319
	v_add3_u32 v8, v25, v11, 1                                 // 000000003C88: D1FF0008 02061719
	v_cndmask_b32_e64 v5, v8, v10, s[56:57]                    // 000000003C90: D1000005 00E21508
	v_perm_b32 v32, v5, v4, s35                                // 000000003C98: D1ED0020 008E0905
	v_cmp_u_f32_e64 s[56:57], v26, v26                         // 000000003CA0: D0480038 0002351A
	v_add3_u32 v8, v26, v11, 1                                 // 000000003CA8: D1FF0008 0206171A
	v_cndmask_b32_e64 v4, v8, v10, s[56:57]                    // 000000003CB0: D1000004 00E21508
	v_cmp_u_f32_e64 s[56:57], v27, v27                         // 000000003CB8: D0480038 0002371B
	v_add3_u32 v8, v27, v11, 1                                 // 000000003CC0: D1FF0008 0206171B
	v_cndmask_b32_e64 v5, v8, v10, s[56:57]                    // 000000003CC8: D1000005 00E21508
	v_perm_b32 v33, v5, v4, s35                                // 000000003CD0: D1ED0021 008E0905
	v_cmp_u_f32_e64 s[56:57], v28, v28                         // 000000003CD8: D0480038 0002391C
	v_add3_u32 v8, v28, v11, 1                                 // 000000003CE0: D1FF0008 0206171C
	v_cndmask_b32_e64 v4, v8, v10, s[56:57]                    // 000000003CE8: D1000004 00E21508
	v_cmp_u_f32_e64 s[56:57], v29, v29                         // 000000003CF0: D0480038 00023B1D
	v_add3_u32 v8, v29, v11, 1                                 // 000000003CF8: D1FF0008 0206171D
	v_cndmask_b32_e64 v5, v8, v10, s[56:57]                    // 000000003D00: D1000005 00E21508
	v_perm_b32 v34, v5, v4, s35                                // 000000003D08: D1ED0022 008E0905
	v_cmp_u_f32_e64 s[56:57], v30, v30                         // 000000003D10: D0480038 00023D1E
	v_add3_u32 v8, v30, v11, 1                                 // 000000003D18: D1FF0008 0206171E
	v_cndmask_b32_e64 v4, v8, v10, s[56:57]                    // 000000003D20: D1000004 00E21508
	v_cmp_u_f32_e64 s[56:57], v31, v31                         // 000000003D28: D0480038 00023F1F
	v_add3_u32 v8, v31, v11, 1                                 // 000000003D30: D1FF0008 0206171F
	v_cndmask_b32_e64 v5, v8, v10, s[56:57]                    // 000000003D38: D1000005 00E21508
	v_perm_b32 v35, v5, v4, s35                                // 000000003D40: D1ED0023 008E0905
	ds_write_b64 v19, v[32:33]                                 // 000000003D48: D89A0000 00002013
	ds_write_b64 v19, v[34:35] offset:2176                     // 000000003D50: D89A0880 00002213
	s_waitcnt lgkmcnt(0)                                       // 000000003D58: BF8CC07F
	s_barrier                                                  // 000000003D5C: BF8A0000
	ds_read_b32 v32, v22                                       // 000000003D60: D86C0000 20000016
	ds_read_b32 v33, v22 offset:64                             // 000000003D68: D86C0040 21000016
	ds_read_b32 v34, v22 offset:2176                           // 000000003D70: D86C0880 22000016
	ds_read_b32 v35, v22 offset:2240                           // 000000003D78: D86C08C0 23000016
	s_waitcnt lgkmcnt(0)                                       // 000000003D80: BF8CC07F
	s_mul_i32 s31, s30, 8                                      // 000000003D84: 921F881E
	v_mov_b32_e32 v4, v14                                      // 000000003D88: 7E08030E
	global_atomic_pk_add_bf16 v4, v32, s[16:17]                // 000000003D8C: DD488000 00102004
	v_add_u32_e64 v4, v4, s31                                  // 000000003D94: D1340004 00003F04
	global_atomic_pk_add_bf16 v4, v33, s[16:17]                // 000000003D9C: DD488000 00102104
	v_add_u32_e64 v4, v4, s31                                  // 000000003DA4: D1340004 00003F04
	global_atomic_pk_add_bf16 v4, v34, s[16:17]                // 000000003DAC: DD488000 00102204
	v_add_u32_e64 v4, v4, s31                                  // 000000003DB4: D1340004 00003F04
	global_atomic_pk_add_bf16 v4, v35, s[16:17]                // 000000003DBC: DD488000 00102304
	v_add_u32_e64 v4, v4, s31                                  // 000000003DC4: D1340004 00003F04
	s_branch label_06A4                                        // 000000003DCC: BF820170

0000000000003dd0 <label_0534>:
	v_mov_b32_e32 v5, 0                                        // 000000003DD0: 7E0A0280
	s_and_b32 s17, s17, 0xffff                                 // 000000003DD4: 8611FF11 0000FFFF
	s_cmp_lt_u32 s50, 1                                        // 000000003DDC: BF0A8132
	s_cbranch_scc0 label_05A6                                  // 000000003DE0: BF84006D
	v_lshrrev_b32_e32 v4, 4, v0                                // 000000003DE4: 20080084
	v_mul_u32_u24_e32 v19, 0x44, v4                            // 000000003DE8: 102608FF 00000044
	v_and_b32_e32 v4, 15, v0                                   // 000000003DF0: 2608008F
	v_mul_lo_u32 v5, 4, v4                                     // 000000003DF4: D2850005 00020884
	v_add_u32_e32 v19, v5, v19                                 // 000000003DFC: 68262705
	s_mul_i32 s31, s24, 0x110                                  // 000000003E00: 921FFF18 00000110
	v_add_u32_e32 v19, s31, v19                                // 000000003E08: 6826261F
	v_lshlrev_b32_e32 v19, 2, v19                              // 000000003E0C: 24262682
	v_lshrrev_b32_e32 v4, 2, v0                                // 000000003E10: 20080082
	v_mul_u32_u24_e32 v22, 0x44, v4                            // 000000003E14: 102C08FF 00000044
	v_and_b32_e32 v4, 3, v0                                    // 000000003E1C: 26080083
	v_add_u32_e32 v22, v4, v22                                 // 000000003E20: 682C2D04
	s_mul_i32 s31, s24, 4                                      // 000000003E24: 921F8418
	v_add_u32_e32 v22, s31, v22                                // 000000003E28: 682C2C1F
	v_lshlrev_b32_e32 v22, 2, v22                              // 000000003E2C: 242C2C82
	s_lshr_b32 s31, s51, 2                                     // 000000003E30: 8F1F8233
	s_and_b32 s32, s51, 3                                      // 000000003E34: 86208333
	s_cmp_lt_u32 s24, s32                                      // 000000003E38: BF0A2018
	s_cselect_b32 s32, 1, 0                                    // 000000003E3C: 85208081
	s_add_u32 s51, s31, s32                                    // 000000003E40: 8033201F
	s_mov_b32 s33, 0                                           // 000000003E44: BEA10080
	s_waitcnt vmcnt(0) expcnt(0) lgkmcnt(0)                    // 000000003E48: BF8C0000
	s_barrier                                                  // 000000003E4C: BF8A0000
	ds_write_b128 v19, v[24:27]                                // 000000003E50: D9BE0000 00001813
	ds_write_b128 v19, v[28:31] offset:4352                    // 000000003E58: D9BE1100 00001C13
	s_waitcnt lgkmcnt(0)                                       // 000000003E60: BF8CC07F
	s_barrier                                                  // 000000003E64: BF8A0000
	ds_read_b32 v24, v22                                       // 000000003E68: D86C0000 18000016
	ds_read_b32 v25, v22 offset:64                             // 000000003E70: D86C0040 19000016
	ds_read_b32 v26, v22 offset:128                            // 000000003E78: D86C0080 1A000016
	ds_read_b32 v27, v22 offset:192                            // 000000003E80: D86C00C0 1B000016
	ds_read_b32 v28, v22 offset:4352                           // 000000003E88: D86C1100 1C000016
	ds_read_b32 v29, v22 offset:4416                           // 000000003E90: D86C1140 1D000016
	ds_read_b32 v30, v22 offset:4480                           // 000000003E98: D86C1180 1E000016
	ds_read_b32 v31, v22 offset:4544                           // 000000003EA0: D86C11C0 1F000016
	s_waitcnt lgkmcnt(0)                                       // 000000003EA8: BF8CC07F
	s_mul_i32 s31, s30, 4                                      // 000000003EAC: 921F841E
	v_mov_b32_e32 v4, v14                                      // 000000003EB0: 7E08030E
	s_cmp_lt_i32 s33, s51                                      // 000000003EB4: BF043321
	s_cbranch_scc0 label_06A4                                  // 000000003EB8: BF840135
	global_atomic_add_f32 v4, v24, s[16:17]                    // 000000003EBC: DD348000 00101804
	v_add_u32_e64 v4, v4, s31                                  // 000000003EC4: D1340004 00003F04
	s_addk_i32 s33, 0x1                                        // 000000003ECC: B7210001
	s_cmp_lt_i32 s33, s51                                      // 000000003ED0: BF043321
	s_cbranch_scc0 label_06A4                                  // 000000003ED4: BF84012E
	global_atomic_add_f32 v4, v25, s[16:17]                    // 000000003ED8: DD348000 00101904
	v_add_u32_e64 v4, v4, s31                                  // 000000003EE0: D1340004 00003F04
	s_addk_i32 s33, 0x1                                        // 000000003EE8: B7210001
	s_cmp_lt_i32 s33, s51                                      // 000000003EEC: BF043321
	s_cbranch_scc0 label_06A4                                  // 000000003EF0: BF840127
	global_atomic_add_f32 v4, v26, s[16:17]                    // 000000003EF4: DD348000 00101A04
	v_add_u32_e64 v4, v4, s31                                  // 000000003EFC: D1340004 00003F04
	s_addk_i32 s33, 0x1                                        // 000000003F04: B7210001
	s_cmp_lt_i32 s33, s51                                      // 000000003F08: BF043321
	s_cbranch_scc0 label_06A4                                  // 000000003F0C: BF840120
	global_atomic_add_f32 v4, v27, s[16:17]                    // 000000003F10: DD348000 00101B04
	v_add_u32_e64 v4, v4, s31                                  // 000000003F18: D1340004 00003F04
	s_addk_i32 s33, 0x1                                        // 000000003F20: B7210001
	s_cmp_lt_i32 s33, s51                                      // 000000003F24: BF043321
	s_cbranch_scc0 label_06A4                                  // 000000003F28: BF840119
	global_atomic_add_f32 v4, v28, s[16:17]                    // 000000003F2C: DD348000 00101C04
	v_add_u32_e64 v4, v4, s31                                  // 000000003F34: D1340004 00003F04
	s_addk_i32 s33, 0x1                                        // 000000003F3C: B7210001
	s_cmp_lt_i32 s33, s51                                      // 000000003F40: BF043321
	s_cbranch_scc0 label_06A4                                  // 000000003F44: BF840112
	global_atomic_add_f32 v4, v29, s[16:17]                    // 000000003F48: DD348000 00101D04
	v_add_u32_e64 v4, v4, s31                                  // 000000003F50: D1340004 00003F04
	s_addk_i32 s33, 0x1                                        // 000000003F58: B7210001
	s_cmp_lt_i32 s33, s51                                      // 000000003F5C: BF043321
	s_cbranch_scc0 label_06A4                                  // 000000003F60: BF84010B
	global_atomic_add_f32 v4, v30, s[16:17]                    // 000000003F64: DD348000 00101E04
	v_add_u32_e64 v4, v4, s31                                  // 000000003F6C: D1340004 00003F04
	s_addk_i32 s33, 0x1                                        // 000000003F74: B7210001
	s_cmp_lt_i32 s33, s51                                      // 000000003F78: BF043321
	s_cbranch_scc0 label_06A4                                  // 000000003F7C: BF840104
	global_atomic_add_f32 v4, v31, s[16:17]                    // 000000003F80: DD348000 00101F04
	v_add_u32_e64 v4, v4, s31                                  // 000000003F88: D1340004 00003F04
	s_addk_i32 s33, 0x1                                        // 000000003F90: B7210001
	s_branch label_06A4                                        // 000000003F94: BF8200FE

0000000000003f98 <label_05A6>:
	v_lshrrev_b32_e32 v4, 4, v0                                // 000000003F98: 20080084
	v_mul_u32_u24_e32 v19, 34, v4                              // 000000003F9C: 102608A2
	v_and_b32_e32 v4, 15, v0                                   // 000000003FA0: 2608008F
	v_mul_lo_u32 v5, 2, v4                                     // 000000003FA4: D2850005 00020882
	v_add_u32_e32 v19, v5, v19                                 // 000000003FAC: 68262705
	s_mul_i32 s31, s24, 0x88                                   // 000000003FB0: 921FFF18 00000088
	v_add_u32_e32 v19, s31, v19                                // 000000003FB8: 6826261F
	v_lshlrev_b32_e32 v19, 2, v19                              // 000000003FBC: 24262682
	v_and_b32_e32 v4, 31, v0                                   // 000000003FC0: 2608009F
	v_lshrrev_b32_e32 v5, 1, v4                                // 000000003FC4: 200A0881
	v_mul_u32_u24_e32 v22, 34, v5                              // 000000003FC8: 102C0AA2
	v_and_b32_e32 v5, 1, v4                                    // 000000003FCC: 260A0881
	v_add_u32_e32 v22, v5, v22                                 // 000000003FD0: 682C2D05
	v_lshrrev_b32_e32 v4, 5, v0                                // 000000003FD4: 20080085
	v_mul_u32_u24_e32 v4, 8, v4                                // 000000003FD8: 10080888
	v_add_u32_e32 v22, v4, v22                                 // 000000003FDC: 682C2D04
	s_mul_i32 s31, s24, 2                                      // 000000003FE0: 921F8218
	v_add_u32_e32 v22, s31, v22                                // 000000003FE4: 682C2C1F
	v_lshlrev_b32_e32 v22, 2, v22                              // 000000003FE8: 242C2C82
	s_lshr_b32 s31, s51, 2                                     // 000000003FEC: 8F1F8233
	s_and_b32 s32, s51, 3                                      // 000000003FF0: 86208333
	s_cmp_lt_u32 s24, s32                                      // 000000003FF4: BF0A2018
	s_cselect_b32 s32, 1, 0                                    // 000000003FF8: 85208081
	s_add_u32 s51, s31, s32                                    // 000000003FFC: 8033201F
	s_mov_b32 s33, 0                                           // 000000004000: BEA10080
	s_waitcnt vmcnt(0) expcnt(0) lgkmcnt(0)                    // 000000004004: BF8C0000
	s_barrier                                                  // 000000004008: BF8A0000
	v_cmp_u_f32_e64 s[56:57], v24, v24                         // 00000000400C: D0480038 00023118
	v_add3_u32 v8, v24, v11, 1                                 // 000000004014: D1FF0008 02061718
	v_cndmask_b32_e64 v4, v8, v10, s[56:57]                    // 00000000401C: D1000004 00E21508
	v_cmp_u_f32_e64 s[56:57], v25, v25                         // 000000004024: D0480038 00023319
	v_add3_u32 v8, v25, v11, 1                                 // 00000000402C: D1FF0008 02061719
	v_cndmask_b32_e64 v5, v8, v10, s[56:57]                    // 000000004034: D1000005 00E21508
	v_perm_b32 v32, v5, v4, s35                                // 00000000403C: D1ED0020 008E0905
	v_cmp_u_f32_e64 s[56:57], v26, v26                         // 000000004044: D0480038 0002351A
	v_add3_u32 v8, v26, v11, 1                                 // 00000000404C: D1FF0008 0206171A
	v_cndmask_b32_e64 v4, v8, v10, s[56:57]                    // 000000004054: D1000004 00E21508
	v_cmp_u_f32_e64 s[56:57], v27, v27                         // 00000000405C: D0480038 0002371B
	v_add3_u32 v8, v27, v11, 1                                 // 000000004064: D1FF0008 0206171B
	v_cndmask_b32_e64 v5, v8, v10, s[56:57]                    // 00000000406C: D1000005 00E21508
	v_perm_b32 v33, v5, v4, s35                                // 000000004074: D1ED0021 008E0905
	v_cmp_u_f32_e64 s[56:57], v28, v28                         // 00000000407C: D0480038 0002391C
	v_add3_u32 v8, v28, v11, 1                                 // 000000004084: D1FF0008 0206171C
	v_cndmask_b32_e64 v4, v8, v10, s[56:57]                    // 00000000408C: D1000004 00E21508
	v_cmp_u_f32_e64 s[56:57], v29, v29                         // 000000004094: D0480038 00023B1D
	v_add3_u32 v8, v29, v11, 1                                 // 00000000409C: D1FF0008 0206171D
	v_cndmask_b32_e64 v5, v8, v10, s[56:57]                    // 0000000040A4: D1000005 00E21508
	v_perm_b32 v34, v5, v4, s35                                // 0000000040AC: D1ED0022 008E0905
	v_cmp_u_f32_e64 s[56:57], v30, v30                         // 0000000040B4: D0480038 00023D1E
	v_add3_u32 v8, v30, v11, 1                                 // 0000000040BC: D1FF0008 0206171E
	v_cndmask_b32_e64 v4, v8, v10, s[56:57]                    // 0000000040C4: D1000004 00E21508
	v_cmp_u_f32_e64 s[56:57], v31, v31                         // 0000000040CC: D0480038 00023F1F
	v_add3_u32 v8, v31, v11, 1                                 // 0000000040D4: D1FF0008 0206171F
	v_cndmask_b32_e64 v5, v8, v10, s[56:57]                    // 0000000040DC: D1000005 00E21508
	v_perm_b32 v35, v5, v4, s35                                // 0000000040E4: D1ED0023 008E0905
	ds_write_b64 v19, v[32:33]                                 // 0000000040EC: D89A0000 00002013
	ds_write_b64 v19, v[34:35] offset:2176                     // 0000000040F4: D89A0880 00002213
	s_waitcnt lgkmcnt(0)                                       // 0000000040FC: BF8CC07F
	s_barrier                                                  // 000000004100: BF8A0000
	ds_read_b32 v32, v22                                       // 000000004104: D86C0000 20000016
	ds_read_b32 v33, v22 offset:64                             // 00000000410C: D86C0040 21000016
	ds_read_b32 v34, v22 offset:2176                           // 000000004114: D86C0880 22000016
	ds_read_b32 v35, v22 offset:2240                           // 00000000411C: D86C08C0 23000016
	s_waitcnt lgkmcnt(0)                                       // 000000004124: BF8CC07F
	s_mul_i32 s31, s30, 8                                      // 000000004128: 921F881E
	v_mov_b32_e32 v4, v14                                      // 00000000412C: 7E08030E
	s_cmp_lt_i32 s33, s51                                      // 000000004130: BF043321
	s_cbranch_scc0 label_06A4                                  // 000000004134: BF840096
	s_mov_b32 s54, -1                                          // 000000004138: BEB600C1
	s_mov_b32 s55, 0                                           // 00000000413C: BEB70080
	s_mov_b64 exec, s[54:55]                                   // 000000004140: BEFE0136
	global_atomic_pk_add_bf16 v4, v32, s[16:17]                // 000000004144: DD488000 00102004
	s_addk_i32 s33, 0x1                                        // 00000000414C: B7210001
	s_cmp_lt_i32 s33, s51                                      // 000000004150: BF043321
	s_cbranch_scc0 label_06A4                                  // 000000004154: BF84008E
	s_mov_b32 s54, 0                                           // 000000004158: BEB60080
	s_mov_b32 s55, -1                                          // 00000000415C: BEB700C1
	s_mov_b64 exec, s[54:55]                                   // 000000004160: BEFE0136
	global_atomic_pk_add_bf16 v4, v32, s[16:17]                // 000000004164: DD488000 00102004
	s_addk_i32 s33, 0x1                                        // 00000000416C: B7210001
	s_mov_b32 s54, -1                                          // 000000004170: BEB600C1
	s_mov_b32 s55, -1                                          // 000000004174: BEB700C1
	s_mov_b64 exec, s[54:55]                                   // 000000004178: BEFE0136
	v_add_u32_e64 v4, v4, s31                                  // 00000000417C: D1340004 00003F04
	s_cmp_lt_i32 s33, s51                                      // 000000004184: BF043321
	s_cbranch_scc0 label_06A4                                  // 000000004188: BF840081
	s_mov_b32 s54, -1                                          // 00000000418C: BEB600C1
	s_mov_b32 s55, 0                                           // 000000004190: BEB70080
	s_mov_b64 exec, s[54:55]                                   // 000000004194: BEFE0136
	global_atomic_pk_add_bf16 v4, v33, s[16:17]                // 000000004198: DD488000 00102104
	s_addk_i32 s33, 0x1                                        // 0000000041A0: B7210001
	s_cmp_lt_i32 s33, s51                                      // 0000000041A4: BF043321
	s_cbranch_scc0 label_06A4                                  // 0000000041A8: BF840079
	s_mov_b32 s54, 0                                           // 0000000041AC: BEB60080
	s_mov_b32 s55, -1                                          // 0000000041B0: BEB700C1
	s_mov_b64 exec, s[54:55]                                   // 0000000041B4: BEFE0136
	global_atomic_pk_add_bf16 v4, v33, s[16:17]                // 0000000041B8: DD488000 00102104
	s_addk_i32 s33, 0x1                                        // 0000000041C0: B7210001
	s_mov_b32 s54, -1                                          // 0000000041C4: BEB600C1
	s_mov_b32 s55, -1                                          // 0000000041C8: BEB700C1
	s_mov_b64 exec, s[54:55]                                   // 0000000041CC: BEFE0136
	v_add_u32_e64 v4, v4, s31                                  // 0000000041D0: D1340004 00003F04
	s_cmp_lt_i32 s33, s51                                      // 0000000041D8: BF043321
	s_cbranch_scc0 label_06A4                                  // 0000000041DC: BF84006C
	s_mov_b32 s54, -1                                          // 0000000041E0: BEB600C1
	s_mov_b32 s55, 0                                           // 0000000041E4: BEB70080
	s_mov_b64 exec, s[54:55]                                   // 0000000041E8: BEFE0136
	global_atomic_pk_add_bf16 v4, v34, s[16:17]                // 0000000041EC: DD488000 00102204
	s_addk_i32 s33, 0x1                                        // 0000000041F4: B7210001
	s_cmp_lt_i32 s33, s51                                      // 0000000041F8: BF043321
	s_cbranch_scc0 label_06A4                                  // 0000000041FC: BF840064
	s_mov_b32 s54, 0                                           // 000000004200: BEB60080
	s_mov_b32 s55, -1                                          // 000000004204: BEB700C1
	s_mov_b64 exec, s[54:55]                                   // 000000004208: BEFE0136
	global_atomic_pk_add_bf16 v4, v34, s[16:17]                // 00000000420C: DD488000 00102204
	s_addk_i32 s33, 0x1                                        // 000000004214: B7210001
	s_mov_b32 s54, -1                                          // 000000004218: BEB600C1
	s_mov_b32 s55, -1                                          // 00000000421C: BEB700C1
	s_mov_b64 exec, s[54:55]                                   // 000000004220: BEFE0136
	v_add_u32_e64 v4, v4, s31                                  // 000000004224: D1340004 00003F04
	s_cmp_lt_i32 s33, s51                                      // 00000000422C: BF043321
	s_cbranch_scc0 label_06A4                                  // 000000004230: BF840057
	s_mov_b32 s54, -1                                          // 000000004234: BEB600C1
	s_mov_b32 s55, 0                                           // 000000004238: BEB70080
	s_mov_b64 exec, s[54:55]                                   // 00000000423C: BEFE0136
	global_atomic_pk_add_bf16 v4, v35, s[16:17]                // 000000004240: DD488000 00102304
	s_addk_i32 s33, 0x1                                        // 000000004248: B7210001
	s_cmp_lt_i32 s33, s51                                      // 00000000424C: BF043321
	s_cbranch_scc0 label_06A4                                  // 000000004250: BF84004F
	s_mov_b32 s54, 0                                           // 000000004254: BEB60080
	s_mov_b32 s55, -1                                          // 000000004258: BEB700C1
	s_mov_b64 exec, s[54:55]                                   // 00000000425C: BEFE0136
	global_atomic_pk_add_bf16 v4, v35, s[16:17]                // 000000004260: DD488000 00102304
	s_addk_i32 s33, 0x1                                        // 000000004268: B7210001
	s_mov_b32 s54, -1                                          // 00000000426C: BEB600C1
	s_mov_b32 s55, -1                                          // 000000004270: BEB700C1
	s_mov_b64 exec, s[54:55]                                   // 000000004274: BEFE0136
	v_add_u32_e64 v4, v4, s31                                  // 000000004278: D1340004 00003F04
	s_branch label_06A4                                        // 000000004280: BF820043

0000000000004284 <label_0661>:
	s_cmp_lt_u32 s50, 1                                        // 000000004284: BF0A8132
	s_cbranch_scc0 label_0668                                  // 000000004288: BF840005
	buffer_store_dwordx4 v[24:27], v12, s[16:19], 0 offen      // 00000000428C: E07C1000 8004180C
	buffer_store_dwordx4 v[28:31], v13, s[16:19], 0 offen      // 000000004294: E07C1000 80041C0D
	s_branch label_06A4                                        // 00000000429C: BF82003C

00000000000042a0 <label_0668>:
	v_cmp_u_f32_e64 s[56:57], v24, v24                         // 0000000042A0: D0480038 00023118
	v_add3_u32 v8, v24, v11, 1                                 // 0000000042A8: D1FF0008 02061718
	v_cndmask_b32_e64 v4, v8, v10, s[56:57]                    // 0000000042B0: D1000004 00E21508
	v_cmp_u_f32_e64 s[56:57], v25, v25                         // 0000000042B8: D0480038 00023319
	v_add3_u32 v8, v25, v11, 1                                 // 0000000042C0: D1FF0008 02061719
	v_cndmask_b32_e64 v5, v8, v10, s[56:57]                    // 0000000042C8: D1000005 00E21508
	v_perm_b32 v32, v5, v4, s35                                // 0000000042D0: D1ED0020 008E0905
	v_cmp_u_f32_e64 s[56:57], v26, v26                         // 0000000042D8: D0480038 0002351A
	v_add3_u32 v8, v26, v11, 1                                 // 0000000042E0: D1FF0008 0206171A
	v_cndmask_b32_e64 v4, v8, v10, s[56:57]                    // 0000000042E8: D1000004 00E21508
	v_cmp_u_f32_e64 s[56:57], v27, v27                         // 0000000042F0: D0480038 0002371B
	v_add3_u32 v8, v27, v11, 1                                 // 0000000042F8: D1FF0008 0206171B
	v_cndmask_b32_e64 v5, v8, v10, s[56:57]                    // 000000004300: D1000005 00E21508
	v_perm_b32 v33, v5, v4, s35                                // 000000004308: D1ED0021 008E0905
	buffer_store_dwordx2 v[32:33], v12, s[16:19], 0 offen      // 000000004310: E0741000 8004200C
	v_cmp_u_f32_e64 s[56:57], v28, v28                         // 000000004318: D0480038 0002391C
	v_add3_u32 v8, v28, v11, 1                                 // 000000004320: D1FF0008 0206171C
	v_cndmask_b32_e64 v4, v8, v10, s[56:57]                    // 000000004328: D1000004 00E21508
	v_cmp_u_f32_e64 s[56:57], v29, v29                         // 000000004330: D0480038 00023B1D
	v_add3_u32 v8, v29, v11, 1                                 // 000000004338: D1FF0008 0206171D
	v_cndmask_b32_e64 v5, v8, v10, s[56:57]                    // 000000004340: D1000005 00E21508
	v_perm_b32 v34, v5, v4, s35                                // 000000004348: D1ED0022 008E0905
	v_cmp_u_f32_e64 s[56:57], v30, v30                         // 000000004350: D0480038 00023D1E
	v_add3_u32 v8, v30, v11, 1                                 // 000000004358: D1FF0008 0206171E
	v_cndmask_b32_e64 v4, v8, v10, s[56:57]                    // 000000004360: D1000004 00E21508
	v_cmp_u_f32_e64 s[56:57], v31, v31                         // 000000004368: D0480038 00023F1F
	v_add3_u32 v8, v31, v11, 1                                 // 000000004370: D1FF0008 0206171F
	v_cndmask_b32_e64 v5, v8, v10, s[56:57]                    // 000000004378: D1000005 00E21508
	v_perm_b32 v35, v5, v4, s35                                // 000000004380: D1ED0023 008E0905
	buffer_store_dwordx2 v[34:35], v13, s[16:19], 0 offen      // 000000004388: E0741000 8004220D

0000000000004390 <label_06A4>:
	s_waitcnt vmcnt(0) expcnt(0) lgkmcnt(0)                    // 000000004390: BF8C0000
	s_endpgm                                                   // 000000004394: BF810000
